;; amdgpu-corpus repo=ROCm/rocFFT kind=compiled arch=gfx906 opt=O3
	.text
	.amdgcn_target "amdgcn-amd-amdhsa--gfx906"
	.amdhsa_code_object_version 6
	.protected	bluestein_single_back_len85_dim1_sp_op_CI_CI ; -- Begin function bluestein_single_back_len85_dim1_sp_op_CI_CI
	.globl	bluestein_single_back_len85_dim1_sp_op_CI_CI
	.p2align	8
	.type	bluestein_single_back_len85_dim1_sp_op_CI_CI,@function
bluestein_single_back_len85_dim1_sp_op_CI_CI: ; @bluestein_single_back_len85_dim1_sp_op_CI_CI
; %bb.0:
	v_mul_u32_u24_e32 v1, 0xf10, v0
	s_load_dwordx4 s[0:3], s[4:5], 0x28
	v_lshrrev_b32_e32 v1, 16, v1
	v_mad_u64_u32 v[56:57], s[6:7], s6, 15, v[1:2]
	v_mov_b32_e32 v57, 0
	s_waitcnt lgkmcnt(0)
	v_cmp_gt_u64_e32 vcc, s[0:1], v[56:57]
	s_and_saveexec_b64 s[0:1], vcc
	s_cbranch_execz .LBB0_15
; %bb.1:
	s_mov_b32 s0, 0x88888889
	v_mul_hi_u32 v2, v56, s0
	s_load_dwordx2 s[6:7], s[4:5], 0x0
	s_load_dwordx2 s[12:13], s[4:5], 0x38
	v_mul_lo_u16_e32 v1, 17, v1
	v_sub_u16_e32 v59, v0, v1
	v_lshrrev_b32_e32 v2, 3, v2
	v_mul_lo_u32 v2, v2, 15
	v_cmp_gt_u16_e32 vcc, 5, v59
	v_lshlrev_b32_e32 v60, 3, v59
	v_or_b32_e32 v61, 40, v59
	v_sub_u32_e32 v0, v56, v2
	v_mul_u32_u24_e32 v62, 0x55, v0
	v_lshlrev_b32_e32 v63, 3, v62
	s_and_saveexec_b64 s[14:15], vcc
	s_cbranch_execz .LBB0_3
; %bb.2:
	s_load_dwordx2 s[0:1], s[4:5], 0x18
	v_or_b32_e32 v70, 0x50, v59
	s_waitcnt lgkmcnt(0)
	s_load_dwordx4 s[8:11], s[0:1], 0x0
	s_waitcnt lgkmcnt(0)
	v_mad_u64_u32 v[0:1], s[0:1], s10, v56, 0
	v_mad_u64_u32 v[2:3], s[0:1], s8, v59, 0
	;; [unrolled: 1-line block ×4, first 2 shown]
	v_mov_b32_e32 v1, v4
	v_lshlrev_b64 v[0:1], 3, v[0:1]
	v_mov_b32_e32 v3, v5
	v_mov_b32_e32 v6, s3
	v_lshlrev_b64 v[2:3], 3, v[2:3]
	v_add_co_u32_e64 v55, s[0:1], s2, v0
	v_addc_co_u32_e64 v75, s[0:1], v6, v1, s[0:1]
	v_add_co_u32_e64 v0, s[0:1], v55, v2
	v_addc_co_u32_e64 v1, s[0:1], v75, v3, s[0:1]
	s_mul_i32 s0, s9, 40
	s_mul_hi_u32 s3, s8, 40
	s_add_i32 s3, s3, s0
	s_mul_i32 s2, s8, 40
	v_mov_b32_e32 v3, s3
	v_add_co_u32_e64 v2, s[0:1], s2, v0
	v_addc_co_u32_e64 v3, s[0:1], v1, v3, s[0:1]
	v_mov_b32_e32 v5, s3
	v_add_co_u32_e64 v4, s[0:1], s2, v2
	v_addc_co_u32_e64 v5, s[0:1], v3, v5, s[0:1]
	;; [unrolled: 3-line block ×3, first 2 shown]
	global_load_dwordx2 v[8:9], v[0:1], off
	global_load_dwordx2 v[10:11], v[2:3], off
	;; [unrolled: 1-line block ×4, first 2 shown]
	global_load_dwordx2 v[16:17], v60, s[6:7]
	global_load_dwordx2 v[18:19], v60, s[6:7] offset:40
	global_load_dwordx2 v[20:21], v60, s[6:7] offset:80
	;; [unrolled: 1-line block ×3, first 2 shown]
	v_mov_b32_e32 v1, s3
	v_add_co_u32_e64 v0, s[0:1], s2, v6
	v_addc_co_u32_e64 v1, s[0:1], v7, v1, s[0:1]
	global_load_dwordx2 v[2:3], v[0:1], off
	v_mov_b32_e32 v4, s3
	v_add_co_u32_e64 v0, s[0:1], s2, v0
	v_addc_co_u32_e64 v1, s[0:1], v1, v4, s[0:1]
	global_load_dwordx2 v[4:5], v[0:1], off
	v_mov_b32_e32 v6, s3
	v_add_co_u32_e64 v0, s[0:1], s2, v0
	v_addc_co_u32_e64 v1, s[0:1], v1, v6, s[0:1]
	v_mad_u64_u32 v[6:7], s[0:1], s8, v61, 0
	global_load_dwordx2 v[24:25], v60, s[6:7] offset:160
	global_load_dwordx2 v[26:27], v60, s[6:7] offset:200
	global_load_dwordx2 v[28:29], v60, s[6:7] offset:240
	global_load_dwordx2 v[30:31], v60, s[6:7] offset:280
	v_mov_b32_e32 v35, s3
	v_mov_b32_e32 v72, s3
	s_waitcnt vmcnt(13)
	v_mad_u64_u32 v[32:33], s[0:1], s9, v61, v[7:8]
	global_load_dwordx2 v[33:34], v[0:1], off
	v_add_co_u32_e64 v0, s[0:1], s2, v0
	v_mov_b32_e32 v7, v32
	v_addc_co_u32_e64 v1, s[0:1], v1, v35, s[0:1]
	v_lshlrev_b64 v[6:7], 3, v[6:7]
	v_mov_b32_e32 v32, 0x50
	global_load_dwordx2 v[35:36], v[0:1], off
	v_mad_u64_u32 v[0:1], s[0:1], s8, v32, v[0:1]
	v_add_co_u32_e64 v6, s[0:1], v55, v6
	v_addc_co_u32_e64 v7, s[0:1], v75, v7, s[0:1]
	s_mul_i32 s0, s9, 0x50
	v_add_u32_e32 v1, s0, v1
	global_load_dwordx2 v[37:38], v[0:1], off
	v_mov_b32_e32 v32, s3
	v_add_co_u32_e64 v0, s[0:1], s2, v0
	v_addc_co_u32_e64 v1, s[0:1], v1, v32, s[0:1]
	global_load_dwordx2 v[6:7], v[6:7], off
	s_nop 0
	global_load_dwordx2 v[39:40], v[0:1], off
	global_load_dwordx2 v[41:42], v60, s[6:7] offset:320
	global_load_dwordx2 v[43:44], v60, s[6:7] offset:360
	;; [unrolled: 1-line block ×4, first 2 shown]
	v_add_co_u32_e64 v0, s[0:1], s2, v0
	v_addc_co_u32_e64 v1, s[0:1], v1, v32, s[0:1]
	global_load_dwordx2 v[49:50], v[0:1], off
	v_add_co_u32_e64 v0, s[0:1], s2, v0
	v_addc_co_u32_e64 v1, s[0:1], v1, v32, s[0:1]
	global_load_dwordx2 v[51:52], v[0:1], off
	v_add_co_u32_e64 v0, s[0:1], s2, v0
	v_addc_co_u32_e64 v1, s[0:1], v1, v32, s[0:1]
	v_mad_u64_u32 v[66:67], s[0:1], s8, v70, 0
	global_load_dwordx2 v[53:54], v[0:1], off
	global_load_dwordx2 v[57:58], v60, s[6:7] offset:480
	global_load_dwordx2 v[64:65], v60, s[6:7] offset:520
	v_add_co_u32_e64 v0, s[0:1], s2, v0
	v_addc_co_u32_e64 v1, s[0:1], v1, v32, s[0:1]
	v_mov_b32_e32 v32, v67
	global_load_dwordx2 v[68:69], v[0:1], off
	s_waitcnt vmcnt(14)
	v_mad_u64_u32 v[70:71], s[0:1], s9, v70, v[32:33]
	v_add_co_u32_e64 v0, s[0:1], s2, v0
	v_mov_b32_e32 v67, v70
	v_addc_co_u32_e64 v1, s[0:1], v1, v72, s[0:1]
	v_lshlrev_b64 v[66:67], 3, v[66:67]
	global_load_dwordx2 v[71:72], v[0:1], off
	global_load_dwordx2 v[73:74], v60, s[6:7] offset:560
	v_add_co_u32_e64 v66, s[0:1], v55, v66
	global_load_dwordx2 v[0:1], v60, s[6:7] offset:600
	v_addc_co_u32_e64 v67, s[0:1], v75, v67, s[0:1]
	global_load_dwordx2 v[75:76], v[66:67], off
	global_load_dwordx2 v[77:78], v60, s[6:7] offset:640
	v_mul_f32_e32 v66, v9, v17
	v_mul_f32_e32 v32, v8, v17
	v_fmac_f32_e32 v66, v8, v16
	v_mul_f32_e32 v8, v10, v19
	v_fma_f32 v67, v9, v16, -v32
	v_fma_f32 v9, v11, v18, -v8
	v_mul_f32_e32 v8, v11, v19
	v_fmac_f32_e32 v8, v10, v18
	v_mul_f32_e32 v10, v12, v21
	v_fma_f32 v11, v13, v20, -v10
	v_mul_f32_e32 v10, v13, v21
	v_lshl_add_u32 v16, v59, 3, v63
	v_fmac_f32_e32 v10, v12, v20
	v_add_u32_e32 v17, v63, v60
	ds_write_b64 v16, v[66:67]
	ds_write2_b64 v17, v[8:9], v[10:11] offset0:5 offset1:10
	v_mul_f32_e32 v10, v3, v25
	v_mul_f32_e32 v11, v2, v25
	v_fmac_f32_e32 v10, v2, v24
	v_fma_f32 v11, v3, v24, -v11
	v_mul_f32_e32 v2, v5, v27
	v_mul_f32_e32 v3, v4, v27
	v_fmac_f32_e32 v2, v4, v26
	v_fma_f32 v3, v5, v26, -v3
	;; [unrolled: 4-line block ×3, first 2 shown]
	ds_write2_b64 v17, v[2:3], v[4:5] offset0:25 offset1:30
	s_waitcnt vmcnt(18)
	v_mul_f32_e32 v2, v36, v31
	v_mul_f32_e32 v3, v35, v31
	s_waitcnt vmcnt(14)
	v_mul_f32_e32 v4, v7, v42
	v_mul_f32_e32 v5, v6, v42
	v_fmac_f32_e32 v2, v35, v30
	v_fma_f32 v3, v36, v30, -v3
	v_fmac_f32_e32 v4, v6, v41
	v_fma_f32 v5, v7, v41, -v5
	ds_write2_b64 v17, v[2:3], v[4:5] offset0:35 offset1:40
	s_waitcnt vmcnt(13)
	v_mul_f32_e32 v2, v38, v44
	v_mul_f32_e32 v3, v37, v44
	s_waitcnt vmcnt(12)
	v_mul_f32_e32 v4, v40, v46
	v_mul_f32_e32 v5, v39, v46
	v_fmac_f32_e32 v2, v37, v43
	v_fma_f32 v3, v38, v43, -v3
	v_fmac_f32_e32 v4, v39, v45
	v_fma_f32 v5, v40, v45, -v5
	;; [unrolled: 11-line block ×3, first 2 shown]
	ds_write2_b64 v17, v[2:3], v[4:5] offset0:55 offset1:60
	s_waitcnt vmcnt(6)
	v_mul_f32_e32 v2, v54, v65
	v_mul_f32_e32 v3, v53, v65
	v_fmac_f32_e32 v2, v53, v64
	v_fma_f32 v3, v54, v64, -v3
	v_mul_f32_e32 v8, v14, v23
	v_fma_f32 v9, v15, v22, -v8
	v_mul_f32_e32 v8, v15, v23
	v_fmac_f32_e32 v8, v14, v22
	ds_write2_b64 v17, v[8:9], v[10:11] offset0:15 offset1:20
	s_waitcnt vmcnt(3)
	v_mul_f32_e32 v4, v69, v74
	v_mul_f32_e32 v5, v68, v74
	v_fmac_f32_e32 v4, v68, v73
	v_fma_f32 v5, v69, v73, -v5
	ds_write2_b64 v17, v[2:3], v[4:5] offset0:65 offset1:70
	s_waitcnt vmcnt(2)
	v_mul_f32_e32 v2, v72, v1
	v_mul_f32_e32 v1, v71, v1
	v_fmac_f32_e32 v2, v71, v0
	v_fma_f32 v3, v72, v0, -v1
	s_waitcnt vmcnt(0)
	v_mul_f32_e32 v0, v76, v78
	v_mul_f32_e32 v1, v75, v78
	v_fmac_f32_e32 v0, v75, v77
	v_fma_f32 v1, v76, v77, -v1
	ds_write2_b64 v17, v[2:3], v[0:1] offset0:75 offset1:80
.LBB0_3:
	s_or_b64 exec, exec, s[14:15]
	s_load_dwordx2 s[0:1], s[4:5], 0x20
	s_load_dwordx2 s[8:9], s[4:5], 0x8
	v_mov_b32_e32 v20, 0
	v_mov_b32_e32 v21, 0
	s_waitcnt lgkmcnt(0)
	s_barrier
	s_waitcnt lgkmcnt(0)
                                        ; implicit-def: $vgpr25
                                        ; implicit-def: $vgpr9
                                        ; implicit-def: $vgpr55
                                        ; implicit-def: $vgpr51
                                        ; implicit-def: $vgpr47
                                        ; implicit-def: $vgpr42
                                        ; implicit-def: $vgpr38
                                        ; implicit-def: $vgpr34
	s_and_saveexec_b64 s[2:3], vcc
	s_cbranch_execz .LBB0_5
; %bb.4:
	v_lshl_add_u32 v0, v62, 3, v60
	ds_read2_b64 v[20:23], v0 offset1:5
	ds_read2_b64 v[32:35], v0 offset0:10 offset1:15
	ds_read2_b64 v[36:39], v0 offset0:20 offset1:25
	;; [unrolled: 1-line block ×7, first 2 shown]
	ds_read_b64 v[8:9], v0 offset:640
.LBB0_5:
	s_or_b64 exec, exec, s[2:3]
	s_waitcnt lgkmcnt(0)
	v_sub_f32_e32 v28, v23, v9
	v_mul_f32_e32 v65, 0xbeb8f4ab, v28
	v_sub_f32_e32 v29, v33, v55
	v_add_f32_e32 v69, v8, v22
	v_mov_b32_e32 v0, v65
	v_mul_f32_e32 v66, 0xbf2c7751, v29
	v_fmac_f32_e32 v0, 0x3f6eb680, v69
	v_add_f32_e32 v73, v54, v32
	v_mov_b32_e32 v1, v66
	v_sub_f32_e32 v30, v22, v8
	v_add_f32_e32 v70, v9, v23
	v_add_f32_e32 v0, v0, v20
	v_fmac_f32_e32 v1, 0x3f3d2fb0, v73
	s_mov_b32 s2, 0x3f6eb680
	v_mul_f32_e32 v67, 0xbeb8f4ab, v30
	v_sub_f32_e32 v31, v32, v54
	v_add_f32_e32 v0, v1, v0
	v_fma_f32 v1, v70, s2, -v67
	s_mov_b32 s3, 0x3f3d2fb0
	v_add_f32_e32 v75, v55, v33
	v_mul_f32_e32 v68, 0xbf2c7751, v31
	v_sub_f32_e32 v64, v35, v53
	v_add_f32_e32 v1, v1, v21
	v_fma_f32 v2, v75, s3, -v68
	v_mul_f32_e32 v71, 0xbf65296c, v64
	v_add_f32_e32 v1, v2, v1
	v_add_f32_e32 v77, v52, v34
	v_mov_b32_e32 v2, v71
	v_sub_f32_e32 v85, v34, v52
	v_fmac_f32_e32 v2, 0x3ee437d1, v77
	s_mov_b32 s4, 0x3ee437d1
	v_add_f32_e32 v78, v53, v35
	v_mul_f32_e32 v72, 0xbf65296c, v85
	v_sub_f32_e32 v89, v37, v51
	v_add_f32_e32 v0, v2, v0
	v_fma_f32 v2, v78, s4, -v72
	v_mul_f32_e32 v74, 0xbf7ee86f, v89
	v_add_f32_e32 v1, v2, v1
	v_add_f32_e32 v81, v50, v36
	v_mov_b32_e32 v2, v74
	v_sub_f32_e32 v90, v36, v50
	v_fmac_f32_e32 v2, 0x3dbcf732, v81
	;; [unrolled: 12-line block ×5, first 2 shown]
	s_mov_b32 s14, 0xbf59a7d5
	v_add_f32_e32 v100, v45, v43
	v_mul_f32_e32 v91, 0xbf06c442, v129
	v_add_f32_e32 v154, v24, v26
	v_add_f32_e32 v0, v2, v0
	v_fma_f32 v2, v100, s14, -v91
	v_mul_f32_e32 v94, 0xbf7ba420, v154
	v_add_f32_e32 v1, v2, v1
	v_sub_f32_e32 v118, v25, v27
	v_mov_b32_e32 v2, v94
	v_sub_f32_e32 v155, v24, v26
	s_mov_b32 s15, 0xbf7ba420
	v_fmac_f32_e32 v2, 0xbe3c28d5, v118
	v_add_f32_e32 v119, v25, v27
	v_mul_f32_e32 v97, 0xbe3c28d5, v155
	v_add_f32_e32 v57, v2, v0
	v_fma_f32 v0, v119, s15, -v97
	v_mul_f32_e32 v99, 0xbf2c7751, v28
	v_add_f32_e32 v58, v0, v1
	v_mov_b32_e32 v0, v99
	v_mul_f32_e32 v101, 0xbf7ee86f, v29
	v_fmac_f32_e32 v0, 0x3f3d2fb0, v69
	v_mov_b32_e32 v1, v101
	v_add_f32_e32 v0, v0, v20
	v_fmac_f32_e32 v1, 0x3dbcf732, v73
	v_mul_f32_e32 v105, 0xbf2c7751, v30
	v_add_f32_e32 v0, v1, v0
	v_fma_f32 v1, v70, s3, -v105
	v_mul_f32_e32 v106, 0xbf7ee86f, v31
	v_add_f32_e32 v1, v1, v21
	v_fma_f32 v2, v75, s5, -v106
	v_mul_f32_e32 v102, 0xbf4c4adb, v64
	v_add_f32_e32 v1, v2, v1
	v_mov_b32_e32 v2, v102
	v_fmac_f32_e32 v2, 0xbf1a4643, v77
	v_mul_f32_e32 v108, 0xbf4c4adb, v85
	v_add_f32_e32 v0, v2, v0
	v_fma_f32 v2, v78, s11, -v108
	v_mul_f32_e32 v103, 0xbe3c28d5, v89
	v_add_f32_e32 v1, v2, v1
	v_mov_b32_e32 v2, v103
	v_fmac_f32_e32 v2, 0xbf7ba420, v81
	;; [unrolled: 7-line block ×6, first 2 shown]
	v_mul_f32_e32 v117, 0x3eb8f4ab, v155
	v_mul_f32_e32 v120, 0xbf65296c, v28
	v_fma_f32 v3, v119, s2, -v117
	v_add_f32_e32 v2, v2, v0
	v_mov_b32_e32 v0, v120
	v_mul_f32_e32 v121, 0xbf4c4adb, v29
	v_add_f32_e32 v3, v3, v1
	v_fmac_f32_e32 v0, 0x3ee437d1, v69
	v_mov_b32_e32 v1, v121
	v_add_f32_e32 v0, v0, v20
	v_fmac_f32_e32 v1, 0xbf1a4643, v73
	v_mul_f32_e32 v122, 0x3e3c28d5, v64
	v_add_f32_e32 v0, v1, v0
	v_mov_b32_e32 v1, v122
	v_fmac_f32_e32 v1, 0xbf7ba420, v77
	v_mul_f32_e32 v123, 0x3f763a35, v89
	v_add_f32_e32 v0, v1, v0
	v_mov_b32_e32 v1, v123
	v_fmac_f32_e32 v1, 0xbe8c1d8e, v81
	v_mul_f32_e32 v124, 0x3f2c7751, v95
	v_add_f32_e32 v0, v1, v0
	v_mov_b32_e32 v1, v124
	v_fmac_f32_e32 v1, 0x3f3d2fb0, v86
	v_mul_f32_e32 v125, 0xbeb8f4ab, v110
	v_add_f32_e32 v0, v1, v0
	v_mov_b32_e32 v1, v125
	v_fmac_f32_e32 v1, 0x3f6eb680, v92
	v_mul_f32_e32 v126, 0xbf7ee86f, v128
	v_add_f32_e32 v0, v1, v0
	v_mov_b32_e32 v1, v126
	v_fmac_f32_e32 v1, 0x3dbcf732, v98
	v_mul_f32_e32 v127, 0xbf59a7d5, v154
	v_add_f32_e32 v0, v1, v0
	v_mov_b32_e32 v1, v127
	v_fmac_f32_e32 v1, 0xbf06c442, v118
	v_mul_f32_e32 v130, 0xbf65296c, v30
	v_add_f32_e32 v0, v1, v0
	v_fma_f32 v1, v70, s4, -v130
	v_mul_f32_e32 v131, 0xbf4c4adb, v31
	v_add_f32_e32 v1, v1, v21
	v_fma_f32 v4, v75, s11, -v131
	;; [unrolled: 3-line block ×8, first 2 shown]
	v_mul_f32_e32 v138, 0xbf7ee86f, v28
	v_add_f32_e32 v1, v4, v1
	v_mov_b32_e32 v4, v138
	v_mul_f32_e32 v139, 0xbe3c28d5, v29
	v_fmac_f32_e32 v4, 0x3dbcf732, v69
	v_mov_b32_e32 v5, v139
	v_add_f32_e32 v4, v4, v20
	v_fmac_f32_e32 v5, 0xbf7ba420, v73
	v_mul_f32_e32 v143, 0xbf7ee86f, v30
	v_add_f32_e32 v4, v5, v4
	v_fma_f32 v5, v70, s5, -v143
	v_mul_f32_e32 v144, 0xbe3c28d5, v31
	v_add_f32_e32 v5, v5, v21
	v_fma_f32 v6, v75, s15, -v144
	v_mul_f32_e32 v140, 0x3f763a35, v64
	v_add_f32_e32 v5, v6, v5
	v_mov_b32_e32 v6, v140
	v_fmac_f32_e32 v6, 0xbe8c1d8e, v77
	v_mul_f32_e32 v146, 0x3f763a35, v85
	v_add_f32_e32 v4, v6, v4
	v_fma_f32 v6, v78, s10, -v146
	v_mul_f32_e32 v141, 0x3eb8f4ab, v89
	v_add_f32_e32 v5, v6, v5
	v_mov_b32_e32 v6, v141
	v_fmac_f32_e32 v6, 0x3f6eb680, v81
	;; [unrolled: 7-line block ×6, first 2 shown]
	v_mul_f32_e32 v153, 0x3f2c7751, v155
	v_fma_f32 v7, v119, s3, -v153
	v_add_f32_e32 v6, v6, v4
	v_mul_f32_e32 v4, 0xbf763a35, v28
	v_add_f32_e32 v7, v7, v5
	v_fma_f32 v5, v69, s10, -v4
	v_mul_f32_e32 v12, 0x3f06c442, v29
	v_add_f32_e32 v5, v5, v20
	v_fma_f32 v10, v73, s14, -v12
	v_mul_f32_e32 v13, 0xbf763a35, v30
	v_add_f32_e32 v5, v10, v5
	v_mov_b32_e32 v10, v13
	v_mul_f32_e32 v14, 0x3f06c442, v31
	v_fmac_f32_e32 v10, 0xbe8c1d8e, v70
	v_mov_b32_e32 v11, v14
	v_add_f32_e32 v10, v10, v21
	v_fmac_f32_e32 v11, 0xbf59a7d5, v75
	v_mul_f32_e32 v15, 0x3f2c7751, v64
	v_add_f32_e32 v10, v11, v10
	v_fma_f32 v11, v77, s3, -v15
	v_mul_f32_e32 v16, 0x3f2c7751, v85
	v_add_f32_e32 v5, v11, v5
	v_mov_b32_e32 v11, v16
	v_fmac_f32_e32 v11, 0x3f3d2fb0, v78
	v_mul_f32_e32 v17, 0xbf65296c, v89
	v_add_f32_e32 v10, v11, v10
	v_fma_f32 v11, v81, s4, -v17
	v_mul_f32_e32 v18, 0xbf65296c, v90
	v_add_f32_e32 v5, v11, v5
	v_mov_b32_e32 v11, v18
	;; [unrolled: 7-line block ×5, first 2 shown]
	v_fmac_f32_e32 v11, 0x3f6eb680, v100
	v_mul_f32_e32 v161, 0xbf1a4643, v154
	v_add_f32_e32 v11, v11, v10
	v_mov_b32_e32 v10, v161
	v_fmac_f32_e32 v10, 0x3f4c4adb, v118
	v_fmac_f32_e32 v4, 0xbe8c1d8e, v69
	v_add_f32_e32 v10, v10, v5
	v_add_f32_e32 v4, v4, v20
	v_fmac_f32_e32 v12, 0xbf59a7d5, v73
	v_fma_f32 v5, v70, s10, -v13
	v_add_f32_e32 v4, v12, v4
	v_add_f32_e32 v5, v5, v21
	v_fma_f32 v12, v75, s14, -v14
	v_add_f32_e32 v5, v12, v5
	v_fma_f32 v12, v78, s3, -v16
	;; [unrolled: 2-line block ×5, first 2 shown]
	v_mul_f32_e32 v162, 0xbf4c4adb, v155
	v_add_f32_e32 v5, v12, v5
	v_fma_f32 v12, v100, s2, -v160
	v_fmac_f32_e32 v15, 0x3f3d2fb0, v77
	v_add_f32_e32 v5, v12, v5
	v_fma_f32 v12, v119, s11, -v162
	v_mul_f32_e32 v14, 0xbf4c4adb, v28
	v_add_f32_e32 v4, v15, v4
	v_add_f32_e32 v5, v12, v5
	v_fma_f32 v12, v69, s11, -v14
	v_mul_f32_e32 v15, 0x3f763a35, v29
	v_fmac_f32_e32 v17, 0x3ee437d1, v81
	v_add_f32_e32 v12, v12, v20
	v_fma_f32 v13, v73, s10, -v15
	v_mul_f32_e32 v16, 0xbf4c4adb, v30
	v_add_f32_e32 v4, v17, v4
	v_add_f32_e32 v12, v13, v12
	v_mov_b32_e32 v13, v16
	v_mul_f32_e32 v17, 0x3f763a35, v31
	v_fmac_f32_e32 v13, 0xbf1a4643, v70
	v_mov_b32_e32 v18, v17
	v_add_f32_e32 v13, v13, v21
	v_fmac_f32_e32 v18, 0xbe8c1d8e, v75
	v_fmac_f32_e32 v19, 0xbf7ba420, v86
	v_add_f32_e32 v13, v18, v13
	v_mul_f32_e32 v18, 0xbeb8f4ab, v64
	v_add_f32_e32 v4, v19, v4
	v_fma_f32 v19, v77, s2, -v18
	v_add_f32_e32 v12, v19, v12
	v_mul_f32_e32 v19, 0xbeb8f4ab, v85
	v_mov_b32_e32 v156, v19
	v_fmac_f32_e32 v156, 0x3f6eb680, v78
	v_fmac_f32_e32 v157, 0x3dbcf732, v92
	v_add_f32_e32 v13, v156, v13
	v_mul_f32_e32 v156, 0xbf06c442, v89
	v_add_f32_e32 v4, v157, v4
	v_fma_f32 v157, v81, s14, -v156
	v_add_f32_e32 v12, v157, v12
	v_mul_f32_e32 v157, 0xbf06c442, v90
	v_mov_b32_e32 v158, v157
	;; [unrolled: 9-line block ×3, first 2 shown]
	v_fmac_f32_e32 v160, 0x3dbcf732, v87
	v_fmac_f32_e32 v161, 0xbf4c4adb, v118
	v_add_f32_e32 v13, v160, v13
	v_mul_f32_e32 v160, 0xbf2c7751, v110
	v_add_f32_e32 v4, v161, v4
	v_fma_f32 v161, v92, s3, -v160
	v_fmac_f32_e32 v14, 0xbf1a4643, v69
	v_add_f32_e32 v12, v161, v12
	v_mul_f32_e32 v161, 0xbf2c7751, v113
	v_add_f32_e32 v14, v14, v20
	v_fmac_f32_e32 v15, 0xbe8c1d8e, v73
	v_mov_b32_e32 v163, v162
	v_mov_b32_e32 v162, v161
	v_add_f32_e32 v14, v15, v14
	v_fma_f32 v15, v70, s11, -v16
	v_fmac_f32_e32 v162, 0x3f3d2fb0, v93
	v_add_f32_e32 v15, v15, v21
	v_fma_f32 v16, v75, s10, -v17
	v_fmac_f32_e32 v163, 0xbf1a4643, v119
	v_add_f32_e32 v13, v162, v13
	v_mul_f32_e32 v162, 0xbe3c28d5, v128
	v_add_f32_e32 v15, v16, v15
	v_fma_f32 v16, v78, s2, -v19
	v_add_f32_e32 v11, v163, v11
	v_fma_f32 v163, v98, s15, -v162
	v_fmac_f32_e32 v18, 0x3f6eb680, v77
	v_add_f32_e32 v15, v16, v15
	v_fma_f32 v16, v82, s14, -v157
	v_add_f32_e32 v12, v163, v12
	v_mul_f32_e32 v163, 0xbe3c28d5, v129
	v_add_f32_e32 v14, v18, v14
	v_fmac_f32_e32 v156, 0xbf59a7d5, v81
	v_add_f32_e32 v15, v16, v15
	v_fma_f32 v16, v87, s5, -v159
	v_mov_b32_e32 v164, v163
	v_add_f32_e32 v14, v156, v14
	v_fmac_f32_e32 v158, 0x3dbcf732, v86
	v_add_f32_e32 v15, v16, v15
	v_fma_f32 v16, v93, s3, -v161
	v_fmac_f32_e32 v164, 0xbf7ba420, v100
	v_mul_f32_e32 v166, 0x3f65296c, v155
	v_add_f32_e32 v14, v158, v14
	v_fmac_f32_e32 v160, 0x3f3d2fb0, v92
	v_add_f32_e32 v15, v16, v15
	v_fma_f32 v16, v100, s15, -v163
	v_add_f32_e32 v13, v164, v13
	v_mul_f32_e32 v164, 0x3ee437d1, v154
	v_add_f32_e32 v14, v160, v14
	v_fmac_f32_e32 v162, 0xbf7ba420, v98
	v_add_f32_e32 v15, v16, v15
	v_fma_f32 v16, v119, s4, -v166
	v_mov_b32_e32 v165, v164
	v_add_f32_e32 v14, v162, v14
	v_fmac_f32_e32 v164, 0x3f65296c, v118
	v_add_f32_e32 v19, v16, v15
	v_mul_f32_e32 v16, 0xbf06c442, v28
	v_add_f32_e32 v18, v164, v14
	v_fma_f32 v14, v69, s14, -v16
	v_mul_f32_e32 v17, 0x3f65296c, v29
	v_add_f32_e32 v14, v14, v20
	v_fma_f32 v15, v73, s4, -v17
	;; [unrolled: 3-line block ×7, first 2 shown]
	v_mul_f32_e32 v161, 0xbe8c1d8e, v154
	v_add_f32_e32 v14, v15, v14
	v_mov_b32_e32 v15, v161
	v_fmac_f32_e32 v15, 0x3f763a35, v118
	v_mul_f32_e32 v162, 0xbf06c442, v30
	v_add_f32_e32 v14, v15, v14
	v_mov_b32_e32 v15, v162
	v_mul_f32_e32 v163, 0x3f65296c, v31
	v_fmac_f32_e32 v15, 0xbf59a7d5, v70
	v_mov_b32_e32 v164, v163
	v_add_f32_e32 v15, v15, v21
	v_fmac_f32_e32 v164, 0x3ee437d1, v75
	v_fmac_f32_e32 v165, 0xbf65296c, v118
	v_add_f32_e32 v15, v164, v15
	v_mul_f32_e32 v164, 0xbf7ee86f, v85
	v_add_f32_e32 v12, v165, v12
	v_mov_b32_e32 v165, v164
	v_fmac_f32_e32 v165, 0x3dbcf732, v78
	v_add_f32_e32 v15, v165, v15
	v_mul_f32_e32 v165, 0x3f4c4adb, v90
	v_mov_b32_e32 v167, v166
	v_mov_b32_e32 v166, v165
	v_fmac_f32_e32 v166, 0xbf1a4643, v82
	v_fmac_f32_e32 v167, 0x3ee437d1, v119
	v_add_f32_e32 v15, v166, v15
	v_mul_f32_e32 v166, 0xbeb8f4ab, v96
	v_add_f32_e32 v13, v167, v13
	v_mov_b32_e32 v167, v166
	v_fmac_f32_e32 v16, 0xbf59a7d5, v69
	v_fmac_f32_e32 v167, 0x3f6eb680, v87
	v_add_f32_e32 v16, v16, v20
	v_fmac_f32_e32 v17, 0x3ee437d1, v73
	v_add_f32_e32 v15, v167, v15
	v_mul_f32_e32 v167, 0xbe3c28d5, v113
	v_add_f32_e32 v16, v17, v16
	v_fmac_f32_e32 v156, 0x3dbcf732, v77
	v_fma_f32 v17, v70, s14, -v162
	v_mov_b32_e32 v168, v167
	v_add_f32_e32 v16, v156, v16
	v_add_f32_e32 v17, v17, v21
	v_fma_f32 v156, v75, s4, -v163
	v_fmac_f32_e32 v168, 0xbf7ba420, v93
	v_add_f32_e32 v17, v156, v17
	v_fma_f32 v156, v78, s5, -v164
	v_add_f32_e32 v15, v168, v15
	v_mul_f32_e32 v168, 0x3f2c7751, v129
	v_add_f32_e32 v17, v156, v17
	v_fma_f32 v156, v82, s11, -v165
	v_mov_b32_e32 v169, v168
	v_add_f32_e32 v17, v156, v17
	v_fma_f32 v156, v87, s2, -v166
	v_fmac_f32_e32 v169, 0x3f3d2fb0, v100
	v_add_f32_e32 v17, v156, v17
	v_fma_f32 v156, v93, s15, -v167
	v_add_f32_e32 v15, v169, v15
	v_mul_f32_e32 v169, 0xbf763a35, v155
	v_add_f32_e32 v17, v156, v17
	v_fma_f32 v156, v100, s3, -v168
	v_add_f32_e32 v17, v156, v17
	v_fma_f32 v156, v119, s10, -v169
	v_fmac_f32_e32 v157, 0xbf1a4643, v81
	v_add_f32_e32 v17, v156, v17
	v_mul_f32_e32 v156, 0xbe3c28d5, v28
	v_add_f32_e32 v16, v157, v16
	v_fmac_f32_e32 v158, 0x3f6eb680, v86
	v_fma_f32 v28, v69, s15, -v156
	v_mul_f32_e32 v157, 0x3eb8f4ab, v29
	v_add_f32_e32 v16, v158, v16
	v_add_f32_e32 v28, v28, v20
	v_fma_f32 v29, v73, s2, -v157
	v_mul_f32_e32 v158, 0xbe3c28d5, v30
	v_add_f32_e32 v28, v29, v28
	v_mov_b32_e32 v29, v158
	v_mul_f32_e32 v31, 0x3eb8f4ab, v31
	v_fmac_f32_e32 v29, 0xbf7ba420, v70
	v_mov_b32_e32 v30, v31
	v_add_f32_e32 v29, v29, v21
	v_fmac_f32_e32 v30, 0x3f6eb680, v75
	v_add_f32_e32 v29, v30, v29
	v_mul_f32_e32 v30, 0xbf06c442, v64
	v_fma_f32 v64, v77, s14, -v30
	v_add_f32_e32 v28, v64, v28
	v_mul_f32_e32 v64, 0xbf06c442, v85
	v_mov_b32_e32 v85, v64
	v_fmac_f32_e32 v85, 0xbf59a7d5, v78
	v_add_f32_e32 v29, v85, v29
	v_mul_f32_e32 v85, 0x3f2c7751, v89
	v_fma_f32 v89, v81, s3, -v85
	v_add_f32_e32 v28, v89, v28
	v_mul_f32_e32 v89, 0x3f2c7751, v90
	v_mov_b32_e32 v90, v89
	;; [unrolled: 7-line block ×5, first 2 shown]
	v_fmac_f32_e32 v129, 0xbe8c1d8e, v100
	v_add_f32_e32 v29, v129, v29
	v_mul_f32_e32 v129, 0x3dbcf732, v154
	v_mov_b32_e32 v154, v129
	v_fmac_f32_e32 v154, 0xbf7ee86f, v118
	v_fmac_f32_e32 v156, 0xbf7ba420, v69
	v_add_f32_e32 v28, v154, v28
	v_add_f32_e32 v154, v156, v20
	v_fmac_f32_e32 v157, 0x3f6eb680, v73
	v_add_f32_e32 v154, v157, v154
	v_fmac_f32_e32 v30, 0xbf59a7d5, v77
	;; [unrolled: 2-line block ×3, first 2 shown]
	v_add_f32_e32 v30, v85, v30
	v_fma_f32 v85, v70, s15, -v158
	v_add_f32_e32 v85, v85, v21
	v_fma_f32 v31, v75, s2, -v31
	;; [unrolled: 2-line block ×4, first 2 shown]
	v_fmac_f32_e32 v90, 0xbf1a4643, v86
	v_add_f32_e32 v31, v64, v31
	v_fma_f32 v64, v87, s11, -v95
	v_fmac_f32_e32 v159, 0xbf7ba420, v92
	v_mul_f32_e32 v155, 0x3f7ee86f, v155
	v_add_f32_e32 v30, v90, v30
	v_fmac_f32_e32 v96, 0x3ee437d1, v92
	v_add_f32_e32 v31, v64, v31
	v_fma_f32 v64, v93, s4, -v110
	v_mov_b32_e32 v170, v169
	v_add_f32_e32 v16, v159, v16
	v_fmac_f32_e32 v160, 0x3f3d2fb0, v98
	v_mov_b32_e32 v159, v155
	v_add_f32_e32 v30, v96, v30
	v_fmac_f32_e32 v113, 0xbe8c1d8e, v98
	v_add_f32_e32 v31, v64, v31
	v_fma_f32 v64, v100, s10, -v128
	v_fmac_f32_e32 v170, 0xbe8c1d8e, v119
	v_add_f32_e32 v16, v160, v16
	v_fmac_f32_e32 v161, 0xbf763a35, v118
	v_fmac_f32_e32 v159, 0x3dbcf732, v119
	v_add_f32_e32 v30, v113, v30
	v_fmac_f32_e32 v129, 0x3f7ee86f, v118
	v_add_f32_e32 v31, v64, v31
	v_fma_f32 v64, v119, s5, -v155
	v_add_f32_e32 v15, v170, v15
	v_add_f32_e32 v16, v161, v16
	;; [unrolled: 1-line block ×5, first 2 shown]
	v_mul_lo_u16_e32 v64, 17, v59
	s_barrier
	s_and_saveexec_b64 s[2:3], vcc
	s_cbranch_execz .LBB0_7
; %bb.6:
	v_mul_f32_e32 v85, 0x3f6eb680, v69
	v_mul_f32_e32 v90, 0x3f3d2fb0, v69
	;; [unrolled: 1-line block ×12, first 2 shown]
	v_sub_f32_e32 v69, v69, v138
	v_mul_f32_e32 v128, 0x3f3d2fb0, v75
	v_mul_f32_e32 v154, 0x3dbcf732, v75
	;; [unrolled: 1-line block ×8, first 2 shown]
	v_add_f32_e32 v70, v143, v70
	v_add_f32_e32 v69, v69, v20
	v_sub_f32_e32 v73, v73, v139
	v_mul_f32_e32 v158, 0x3ee437d1, v78
	v_mul_f32_e32 v160, 0xbf1a4643, v78
	v_mul_f32_e32 v162, 0xbf7ba420, v78
	v_mul_f32_e32 v78, 0xbe8c1d8e, v78
	v_mul_f32_e32 v163, 0x3dbcf732, v81
	v_mul_f32_e32 v165, 0xbf7ba420, v81
	v_mul_f32_e32 v167, 0xbe8c1d8e, v81
	v_mul_f32_e32 v81, 0x3f6eb680, v81
	v_add_f32_e32 v70, v70, v21
	v_add_f32_e32 v75, v144, v75
	v_add_f32_e32 v69, v73, v69
	v_sub_f32_e32 v73, v77, v140
	v_mul_f32_e32 v164, 0x3dbcf732, v82
	v_mul_f32_e32 v166, 0xbf7ba420, v82
	v_mul_f32_e32 v168, 0xbe8c1d8e, v82
	v_mul_f32_e32 v82, 0x3f6eb680, v82
	v_mul_f32_e32 v169, 0xbe8c1d8e, v86
	v_mul_f32_e32 v171, 0xbf59a7d5, v86
	v_mul_f32_e32 v173, 0x3f3d2fb0, v86
	v_mul_f32_e32 v86, 0x3ee437d1, v86
	v_add_f32_e32 v70, v75, v70
	;; [unrolled: 12-line block ×5, first 2 shown]
	v_add_f32_e32 v75, v151, v93
	v_add_f32_e32 v69, v73, v69
	v_sub_f32_e32 v73, v98, v147
	v_mul_f32_e32 v188, 0xbf7ba420, v119
	v_mul_f32_e32 v190, 0x3f6eb680, v119
	;; [unrolled: 1-line block ×4, first 2 shown]
	v_add_f32_e32 v70, v75, v70
	v_add_f32_e32 v75, v152, v100
	;; [unrolled: 1-line block ×3, first 2 shown]
	v_sub_f32_e32 v73, v149, v118
	v_add_f32_e32 v70, v75, v70
	v_add_f32_e32 v75, v119, v153
	;; [unrolled: 1-line block ×20, first 2 shown]
	v_sub_f32_e32 v73, v96, v120
	v_add_f32_e32 v73, v73, v20
	v_sub_f32_e32 v75, v155, v121
	v_add_f32_e32 v73, v75, v73
	;; [unrolled: 2-line block ×8, first 2 shown]
	v_add_f32_e32 v73, v105, v95
	v_add_f32_e32 v73, v73, v21
	;; [unrolled: 1-line block ×16, first 2 shown]
	v_sub_f32_e32 v73, v90, v99
	v_add_f32_e32 v67, v67, v89
	v_sub_f32_e32 v65, v85, v65
	v_add_f32_e32 v73, v73, v20
	v_add_f32_e32 v67, v67, v21
	;; [unrolled: 1-line block ×20, first 2 shown]
	v_sub_f32_e32 v66, v113, v66
	v_add_f32_e32 v21, v27, v21
	v_add_f32_e32 v20, v26, v20
	v_sub_f32_e32 v75, v129, v101
	v_add_f32_e32 v67, v68, v67
	v_add_f32_e32 v68, v72, v158
	v_add_f32_e32 v65, v66, v65
	v_sub_f32_e32 v66, v157, v71
	v_add_f32_e32 v21, v45, v21
	;; [unrolled: 4-line block ×13, first 2 shown]
	v_add_f32_e32 v66, v66, v65
	v_add_f32_e32 v9, v9, v21
	;; [unrolled: 1-line block ×3, first 2 shown]
	v_add_lshl_u32 v20, v62, v64, 3
	v_add_f32_e32 v81, v75, v73
	ds_write2_b64 v20, v[8:9], v[66:67] offset1:1
	ds_write2_b64 v20, v[81:82], v[77:78] offset0:2 offset1:3
	ds_write2_b64 v20, v[69:70], v[10:11] offset0:4 offset1:5
	;; [unrolled: 1-line block ×7, first 2 shown]
	ds_write_b64 v20, v[57:58] offset:128
.LBB0_7:
	s_or_b64 exec, exec, s[2:3]
	v_lshlrev_b32_e32 v8, 5, v59
	s_load_dwordx4 s[0:3], s[0:1], 0x0
	s_waitcnt lgkmcnt(0)
	s_barrier
	global_load_dwordx4 v[24:27], v8, s[8:9]
	global_load_dwordx4 v[20:23], v8, s[8:9] offset:16
	v_add_lshl_u32 v53, v62, v59, 3
	ds_read2_b64 v[32:35], v53 offset1:17
	ds_read2_b64 v[36:39], v53 offset0:34 offset1:51
	ds_read_b64 v[8:9], v53 offset:544
	v_lshl_add_u32 v52, v59, 3, v63
	s_waitcnt vmcnt(1) lgkmcnt(2)
	v_mul_f32_e32 v40, v35, v25
	v_mul_f32_e32 v41, v34, v25
	s_waitcnt lgkmcnt(1)
	v_mul_f32_e32 v42, v37, v27
	v_mul_f32_e32 v43, v36, v27
	s_waitcnt vmcnt(0)
	v_mul_f32_e32 v44, v39, v21
	v_mul_f32_e32 v45, v38, v21
	s_waitcnt lgkmcnt(0)
	v_mul_f32_e32 v46, v9, v23
	v_mul_f32_e32 v47, v8, v23
	v_fma_f32 v34, v34, v24, -v40
	v_fmac_f32_e32 v41, v35, v24
	v_fma_f32 v35, v36, v26, -v42
	v_fmac_f32_e32 v43, v37, v26
	;; [unrolled: 2-line block ×4, first 2 shown]
	v_add_f32_e32 v8, v32, v34
	v_add_f32_e32 v9, v35, v36
	v_sub_f32_e32 v37, v34, v35
	v_sub_f32_e32 v38, v40, v36
	v_add_f32_e32 v39, v34, v40
	v_add_f32_e32 v50, v43, v45
	;; [unrolled: 1-line block ×3, first 2 shown]
	v_sub_f32_e32 v46, v35, v34
	v_add_f32_e32 v49, v33, v41
	v_sub_f32_e32 v51, v34, v40
	v_sub_f32_e32 v54, v35, v36
	;; [unrolled: 1-line block ×4, first 2 shown]
	v_add_f32_e32 v35, v8, v35
	v_fma_f32 v8, -0.5, v9, v32
	v_add_f32_e32 v67, v37, v38
	v_fma_f32 v38, -0.5, v39, v32
	v_fma_f32 v9, -0.5, v50, v33
	v_fma_f32 v39, -0.5, v65, v33
	v_sub_f32_e32 v42, v41, v47
	v_sub_f32_e32 v44, v43, v45
	;; [unrolled: 1-line block ×4, first 2 shown]
	v_add_f32_e32 v32, v49, v43
	v_add_f32_e32 v43, v34, v55
	v_add_f32_e32 v33, v35, v36
	v_mov_b32_e32 v34, v8
	v_mov_b32_e32 v36, v38
	;; [unrolled: 1-line block ×4, first 2 shown]
	v_sub_f32_e32 v66, v45, v47
	v_fmac_f32_e32 v8, 0xbf737871, v42
	v_fmac_f32_e32 v38, 0x3f737871, v44
	;; [unrolled: 1-line block ×8, first 2 shown]
	v_add_f32_e32 v46, v46, v48
	v_add_f32_e32 v41, v41, v66
	;; [unrolled: 1-line block ×3, first 2 shown]
	v_fmac_f32_e32 v8, 0xbf167918, v44
	v_fmac_f32_e32 v38, 0xbf167918, v42
	v_fmac_f32_e32 v9, 0x3f167918, v54
	v_fmac_f32_e32 v39, 0x3f167918, v51
	v_fmac_f32_e32 v34, 0x3f167918, v44
	v_fmac_f32_e32 v36, 0x3f167918, v42
	v_fmac_f32_e32 v35, 0xbf167918, v54
	v_fmac_f32_e32 v37, 0xbf167918, v51
	v_add_f32_e32 v32, v33, v40
	v_add_f32_e32 v33, v45, v47
	v_fmac_f32_e32 v8, 0x3e9e377a, v67
	v_fmac_f32_e32 v38, 0x3e9e377a, v46
	;; [unrolled: 1-line block ×8, first 2 shown]
	ds_write2_b64 v52, v[32:33], v[34:35] offset1:17
	ds_write2_b64 v52, v[36:37], v[38:39] offset0:34 offset1:51
	ds_write_b64 v52, v[8:9] offset:544
	s_waitcnt lgkmcnt(0)
	s_barrier
	s_and_saveexec_b64 s[4:5], vcc
	s_cbranch_execz .LBB0_9
; %bb.8:
	global_load_dwordx2 v[54:55], v60, s[6:7] offset:680
	s_add_u32 s8, s6, 0x2a8
	s_addc_u32 s9, s7, 0
	global_load_dwordx2 v[81:82], v60, s[8:9] offset:40
	global_load_dwordx2 v[83:84], v60, s[8:9] offset:80
	;; [unrolled: 1-line block ×15, first 2 shown]
	ds_read2_b64 v[40:43], v52 offset1:5
	ds_read2_b64 v[44:47], v52 offset0:10 offset1:15
	global_load_dwordx2 v[111:112], v60, s[8:9] offset:640
	ds_read2_b64 v[48:51], v52 offset0:20 offset1:25
	ds_read2_b64 v[65:68], v52 offset0:30 offset1:35
	;; [unrolled: 1-line block ×5, first 2 shown]
	s_waitcnt vmcnt(13) lgkmcnt(5)
	v_mul_f32_e32 v115, v47, v86
	s_waitcnt vmcnt(12) lgkmcnt(4)
	v_mul_f32_e32 v116, v49, v88
	s_waitcnt vmcnt(11)
	v_mul_f32_e32 v117, v51, v90
	s_waitcnt vmcnt(10) lgkmcnt(3)
	v_mul_f32_e32 v118, v66, v92
	s_waitcnt vmcnt(9)
	;; [unrolled: 4-line block ×4, first 2 shown]
	v_mul_f32_e32 v123, v76, v102
	v_mul_f32_e32 v113, v41, v55
	;; [unrolled: 1-line block ×3, first 2 shown]
	v_fma_f32 v113, v40, v54, -v113
	v_fmac_f32_e32 v114, v41, v54
	v_mul_f32_e32 v40, v43, v82
	v_mul_f32_e32 v41, v42, v82
	;; [unrolled: 1-line block ×13, first 2 shown]
	v_fma_f32 v40, v42, v81, -v40
	v_fmac_f32_e32 v41, v43, v81
	v_fma_f32 v54, v44, v83, -v54
	v_fmac_f32_e32 v55, v45, v83
	;; [unrolled: 2-line block ×11, first 2 shown]
	ds_write2_b64 v52, v[113:114], v[40:41] offset1:5
	ds_write2_b64 v52, v[54:55], v[81:82] offset0:10 offset1:15
	ds_write2_b64 v52, v[83:84], v[85:86] offset0:20 offset1:25
	;; [unrolled: 1-line block ×5, first 2 shown]
	ds_read2_b64 v[40:43], v52 offset0:70 offset1:75
	s_waitcnt vmcnt(4) lgkmcnt(7)
	v_mul_f32_e32 v102, v78, v104
	v_mul_f32_e32 v100, v77, v104
	s_waitcnt vmcnt(3)
	v_mul_f32_e32 v104, v80, v106
	v_mul_f32_e32 v45, v79, v106
	v_fma_f32 v99, v77, v103, -v102
	v_fmac_f32_e32 v100, v78, v103
	v_fma_f32 v44, v79, v105, -v104
	v_fmac_f32_e32 v45, v80, v105
	ds_write2_b64 v52, v[99:100], v[44:45] offset0:60 offset1:65
	s_waitcnt vmcnt(2) lgkmcnt(1)
	v_mul_f32_e32 v44, v41, v108
	v_mul_f32_e32 v45, v40, v108
	v_fma_f32 v44, v40, v107, -v44
	v_fmac_f32_e32 v45, v41, v107
	ds_read_b64 v[40:41], v52 offset:640
	s_waitcnt vmcnt(1)
	v_mul_f32_e32 v46, v43, v110
	v_mul_f32_e32 v47, v42, v110
	v_fma_f32 v46, v42, v109, -v46
	v_fmac_f32_e32 v47, v43, v109
	s_waitcnt vmcnt(0) lgkmcnt(0)
	v_mul_f32_e32 v42, v41, v112
	v_mul_f32_e32 v43, v40, v112
	v_fma_f32 v42, v40, v111, -v42
	v_fmac_f32_e32 v43, v41, v111
	ds_write2_b64 v52, v[44:45], v[46:47] offset0:70 offset1:75
	ds_write_b64 v52, v[42:43] offset:640
.LBB0_9:
	s_or_b64 exec, exec, s[4:5]
	s_waitcnt lgkmcnt(0)
	s_barrier
	s_and_saveexec_b64 s[4:5], vcc
	s_cbranch_execz .LBB0_11
; %bb.10:
	ds_read2_b64 v[32:35], v52 offset1:5
	ds_read2_b64 v[36:39], v52 offset0:10 offset1:15
	ds_read2_b64 v[8:11], v52 offset0:20 offset1:25
	;; [unrolled: 1-line block ×7, first 2 shown]
	ds_read_b64 v[57:58], v52 offset:640
.LBB0_11:
	s_or_b64 exec, exec, s[4:5]
	s_waitcnt lgkmcnt(0)
	s_barrier
	s_and_saveexec_b64 s[4:5], vcc
	s_cbranch_execz .LBB0_13
; %bb.12:
	v_add_f32_e32 v100, v58, v35
	v_mul_f32_e32 v79, 0xbf7ba420, v100
	v_add_f32_e32 v101, v3, v37
	v_sub_f32_e32 v54, v34, v57
	v_mov_b32_e32 v40, v79
	v_mul_f32_e32 v80, 0x3f6eb680, v101
	v_fmac_f32_e32 v40, 0x3e3c28d5, v54
	v_sub_f32_e32 v55, v36, v2
	v_mov_b32_e32 v41, v80
	v_add_f32_e32 v102, v1, v39
	v_add_f32_e32 v40, v33, v40
	v_fmac_f32_e32 v41, 0xbeb8f4ab, v55
	v_mul_f32_e32 v81, 0xbf59a7d5, v102
	v_add_f32_e32 v40, v41, v40
	v_sub_f32_e32 v65, v38, v0
	v_mov_b32_e32 v41, v81
	v_add_f32_e32 v103, v7, v9
	v_fmac_f32_e32 v41, 0x3f06c442, v65
	v_mul_f32_e32 v82, 0x3f3d2fb0, v103
	v_add_f32_e32 v40, v41, v40
	v_sub_f32_e32 v66, v8, v6
	v_mov_b32_e32 v41, v82
	;; [unrolled: 6-line block ×5, first 2 shown]
	v_sub_f32_e32 v107, v28, v30
	v_fmac_f32_e32 v41, 0x3f763a35, v69
	v_add_f32_e32 v70, v29, v31
	v_mul_f32_e32 v86, 0x3f7ee86f, v107
	s_mov_b32 s17, 0x3dbcf732
	v_sub_f32_e32 v108, v35, v58
	v_add_f32_e32 v40, v41, v40
	v_fma_f32 v41, v70, s17, -v86
	v_mul_f32_e32 v87, 0xbe3c28d5, v108
	v_sub_f32_e32 v109, v37, v3
	v_add_f32_e32 v41, v41, v40
	v_add_f32_e32 v71, v57, v34
	v_mov_b32_e32 v40, v87
	v_mul_f32_e32 v88, 0x3eb8f4ab, v109
	v_fmac_f32_e32 v40, 0xbf7ba420, v71
	v_add_f32_e32 v72, v2, v36
	v_mov_b32_e32 v42, v88
	v_sub_f32_e32 v110, v39, v1
	v_add_f32_e32 v40, v32, v40
	v_fmac_f32_e32 v42, 0x3f6eb680, v72
	v_mul_f32_e32 v89, 0xbf06c442, v110
	v_add_f32_e32 v40, v42, v40
	v_add_f32_e32 v73, v0, v38
	v_mov_b32_e32 v42, v89
	v_sub_f32_e32 v111, v9, v7
	v_fmac_f32_e32 v42, 0xbf59a7d5, v73
	v_mul_f32_e32 v90, 0x3f2c7751, v111
	v_add_f32_e32 v40, v42, v40
	v_add_f32_e32 v74, v6, v8
	v_mov_b32_e32 v42, v90
	v_sub_f32_e32 v112, v11, v5
	v_fmac_f32_e32 v42, 0x3f3d2fb0, v74
	v_mul_f32_e32 v91, 0xbf4c4adb, v112
	v_add_f32_e32 v40, v42, v40
	v_add_f32_e32 v75, v4, v10
	v_mov_b32_e32 v42, v91
	v_sub_f32_e32 v113, v13, v19
	v_fmac_f32_e32 v42, 0xbf1a4643, v75
	v_mul_f32_e32 v92, 0x3f65296c, v113
	v_add_f32_e32 v40, v42, v40
	v_add_f32_e32 v76, v18, v12
	v_mov_b32_e32 v42, v92
	v_sub_f32_e32 v114, v15, v17
	v_fmac_f32_e32 v42, 0x3ee437d1, v76
	v_mul_f32_e32 v93, 0xbf763a35, v114
	v_add_f32_e32 v40, v42, v40
	v_add_f32_e32 v77, v16, v14
	v_mov_b32_e32 v42, v93
	v_sub_f32_e32 v115, v29, v31
	v_fmac_f32_e32 v42, 0xbe8c1d8e, v77
	v_mul_f32_e32 v94, 0x3f7ee86f, v115
	v_add_f32_e32 v40, v42, v40
	v_add_f32_e32 v78, v28, v30
	v_mov_b32_e32 v42, v94
	v_fmac_f32_e32 v42, 0x3dbcf732, v78
	v_mul_f32_e32 v95, 0xbf59a7d5, v100
	v_add_f32_e32 v40, v42, v40
	v_mov_b32_e32 v42, v95
	v_mul_f32_e32 v96, 0x3ee437d1, v101
	v_fmac_f32_e32 v42, 0x3f06c442, v54
	v_mov_b32_e32 v43, v96
	v_add_f32_e32 v42, v33, v42
	v_fmac_f32_e32 v43, 0xbf65296c, v55
	v_mul_f32_e32 v97, 0x3dbcf732, v102
	v_add_f32_e32 v42, v43, v42
	v_mov_b32_e32 v43, v97
	v_fmac_f32_e32 v43, 0x3f7ee86f, v65
	v_mul_f32_e32 v116, 0xbf1a4643, v103
	v_add_f32_e32 v42, v43, v42
	v_mov_b32_e32 v43, v116
	;; [unrolled: 4-line block ×5, first 2 shown]
	s_mov_b32 s16, 0xbe8c1d8e
	v_fmac_f32_e32 v43, 0xbf2c7751, v69
	v_mul_f32_e32 v120, 0xbf763a35, v107
	v_add_f32_e32 v42, v43, v42
	v_fma_f32 v43, v70, s16, -v120
	v_mul_f32_e32 v121, 0xbf06c442, v108
	v_add_f32_e32 v43, v43, v42
	v_mov_b32_e32 v42, v121
	v_mul_f32_e32 v122, 0x3f65296c, v109
	v_fmac_f32_e32 v42, 0xbf59a7d5, v71
	v_mov_b32_e32 v44, v122
	v_add_f32_e32 v42, v32, v42
	v_fmac_f32_e32 v44, 0x3ee437d1, v72
	v_mul_f32_e32 v123, 0xbf7ee86f, v110
	v_add_f32_e32 v42, v44, v42
	v_mov_b32_e32 v44, v123
	v_fmac_f32_e32 v44, 0x3dbcf732, v73
	v_mul_f32_e32 v124, 0x3f4c4adb, v111
	v_add_f32_e32 v42, v44, v42
	v_mov_b32_e32 v44, v124
	;; [unrolled: 4-line block ×7, first 2 shown]
	v_mul_f32_e32 v130, 0xbe8c1d8e, v101
	v_fmac_f32_e32 v44, 0x3f4c4adb, v54
	v_mov_b32_e32 v45, v130
	v_add_f32_e32 v44, v33, v44
	v_fmac_f32_e32 v45, 0xbf763a35, v55
	v_mul_f32_e32 v131, 0x3f6eb680, v102
	v_add_f32_e32 v44, v45, v44
	v_mov_b32_e32 v45, v131
	v_fmac_f32_e32 v45, 0x3eb8f4ab, v65
	v_mul_f32_e32 v132, 0xbf59a7d5, v103
	v_add_f32_e32 v44, v45, v44
	v_mov_b32_e32 v45, v132
	;; [unrolled: 4-line block ×5, first 2 shown]
	s_mov_b32 s15, 0x3ee437d1
	v_fmac_f32_e32 v45, 0x3e3c28d5, v69
	v_mul_f32_e32 v136, 0x3f65296c, v107
	v_add_f32_e32 v44, v45, v44
	v_fma_f32 v45, v70, s15, -v136
	v_mul_f32_e32 v137, 0xbf4c4adb, v108
	v_add_f32_e32 v45, v45, v44
	v_mov_b32_e32 v44, v137
	v_mul_f32_e32 v138, 0x3f763a35, v109
	v_fmac_f32_e32 v44, 0xbf1a4643, v71
	v_mov_b32_e32 v46, v138
	v_add_f32_e32 v44, v32, v44
	v_fmac_f32_e32 v46, 0xbe8c1d8e, v72
	v_mul_f32_e32 v139, 0xbeb8f4ab, v110
	v_add_f32_e32 v44, v46, v44
	v_mov_b32_e32 v46, v139
	v_fmac_f32_e32 v46, 0x3f6eb680, v73
	v_mul_f32_e32 v140, 0xbf06c442, v111
	v_add_f32_e32 v44, v46, v44
	v_mov_b32_e32 v46, v140
	;; [unrolled: 4-line block ×7, first 2 shown]
	v_mul_f32_e32 v146, 0xbf59a7d5, v101
	v_fmac_f32_e32 v46, 0x3f763a35, v54
	v_mov_b32_e32 v47, v146
	v_add_f32_e32 v46, v33, v46
	v_fmac_f32_e32 v47, 0xbf06c442, v55
	v_mul_f32_e32 v147, 0x3f3d2fb0, v102
	v_add_f32_e32 v46, v47, v46
	v_mov_b32_e32 v47, v147
	v_fmac_f32_e32 v47, 0xbf2c7751, v65
	v_mul_f32_e32 v148, 0x3ee437d1, v103
	v_add_f32_e32 v35, v35, v33
	v_add_f32_e32 v46, v47, v46
	v_mov_b32_e32 v47, v148
	v_add_f32_e32 v35, v37, v35
	v_fmac_f32_e32 v47, 0x3f65296c, v66
	v_mul_f32_e32 v149, 0xbf7ba420, v104
	v_add_f32_e32 v35, v39, v35
	v_add_f32_e32 v46, v47, v46
	v_mov_b32_e32 v47, v149
	v_add_f32_e32 v9, v9, v35
	;; [unrolled: 6-line block ×4, first 2 shown]
	v_fmac_f32_e32 v47, 0x3eb8f4ab, v69
	v_mul_f32_e32 v152, 0xbf4c4adb, v107
	v_add_f32_e32 v9, v31, v9
	v_add_f32_e32 v46, v47, v46
	v_fma_f32 v47, v70, s11, -v152
	v_mul_f32_e32 v153, 0xbf763a35, v108
	v_add_f32_e32 v9, v17, v9
	v_add_f32_e32 v47, v47, v46
	v_mov_b32_e32 v46, v153
	v_mul_f32_e32 v154, 0x3f06c442, v109
	v_add_f32_e32 v9, v19, v9
	v_fmac_f32_e32 v46, 0xbe8c1d8e, v71
	v_mov_b32_e32 v48, v154
	v_add_f32_e32 v5, v5, v9
	v_add_f32_e32 v46, v32, v46
	v_fmac_f32_e32 v48, 0xbf59a7d5, v72
	v_mul_f32_e32 v155, 0x3f2c7751, v110
	v_add_f32_e32 v5, v7, v5
	v_add_f32_e32 v46, v48, v46
	v_mov_b32_e32 v48, v155
	v_add_f32_e32 v1, v1, v5
	v_fmac_f32_e32 v48, 0x3f3d2fb0, v73
	v_mul_f32_e32 v156, 0xbf65296c, v111
	v_add_f32_e32 v1, v3, v1
	v_add_f32_e32 v3, v34, v32
	;; [unrolled: 1-line block ×3, first 2 shown]
	v_mov_b32_e32 v48, v156
	v_add_f32_e32 v3, v36, v3
	v_fmac_f32_e32 v48, 0x3ee437d1, v74
	v_mul_f32_e32 v157, 0xbe3c28d5, v112
	v_add_f32_e32 v3, v38, v3
	v_add_f32_e32 v46, v48, v46
	v_mov_b32_e32 v48, v157
	v_add_f32_e32 v3, v8, v3
	v_fmac_f32_e32 v48, 0xbf7ba420, v75
	v_mul_f32_e32 v158, 0x3f7ee86f, v113
	v_add_f32_e32 v3, v10, v3
	v_add_f32_e32 v46, v48, v46
	;; [unrolled: 6-line block ×5, first 2 shown]
	v_mov_b32_e32 v48, v161
	v_mul_f32_e32 v162, 0xbf7ba420, v101
	v_add_f32_e32 v3, v4, v3
	v_fmac_f32_e32 v48, 0x3f7ee86f, v54
	v_mov_b32_e32 v49, v162
	v_add_f32_e32 v3, v6, v3
	v_add_f32_e32 v48, v33, v48
	v_fmac_f32_e32 v49, 0x3e3c28d5, v55
	v_mul_f32_e32 v163, 0xbe8c1d8e, v102
	v_add_f32_e32 v0, v0, v3
	v_fmac_f32_e32 v79, 0xbe3c28d5, v54
	v_add_f32_e32 v48, v49, v48
	v_mov_b32_e32 v49, v163
	v_add_f32_e32 v0, v2, v0
	v_add_f32_e32 v2, v33, v79
	v_fmac_f32_e32 v80, 0x3eb8f4ab, v55
	v_fmac_f32_e32 v49, 0xbf763a35, v65
	v_mul_f32_e32 v164, 0x3f6eb680, v103
	v_add_f32_e32 v2, v80, v2
	v_fmac_f32_e32 v81, 0xbf06c442, v65
	v_add_f32_e32 v48, v49, v48
	v_mov_b32_e32 v49, v164
	v_add_f32_e32 v2, v81, v2
	v_fmac_f32_e32 v82, 0x3f2c7751, v66
	v_fmac_f32_e32 v49, 0xbeb8f4ab, v66
	v_mul_f32_e32 v165, 0x3ee437d1, v104
	v_add_f32_e32 v2, v82, v2
	v_fmac_f32_e32 v83, 0xbf4c4adb, v67
	v_add_f32_e32 v48, v49, v48
	v_mov_b32_e32 v49, v165
	v_add_f32_e32 v2, v83, v2
	v_fmac_f32_e32 v84, 0x3f65296c, v68
	v_fmac_f32_e32 v49, 0x3f65296c, v67
	v_mul_f32_e32 v166, 0xbf59a7d5, v105
	v_add_f32_e32 v2, v84, v2
	v_fmac_f32_e32 v85, 0xbf763a35, v69
	s_mov_b32 s8, 0xbf7ba420
	v_add_f32_e32 v48, v49, v48
	v_mov_b32_e32 v49, v166
	v_add_f32_e32 v2, v85, v2
	v_fmac_f32_e32 v86, 0x3dbcf732, v70
	s_mov_b32 s10, 0x3f6eb680
	v_fmac_f32_e32 v49, 0x3f06c442, v68
	v_mul_f32_e32 v167, 0xbf1a4643, v106
	v_add_f32_e32 v3, v86, v2
	v_fma_f32 v2, v71, s8, -v87
	s_mov_b32 s9, 0xbf59a7d5
	v_add_f32_e32 v48, v49, v48
	v_mov_b32_e32 v49, v167
	v_add_f32_e32 v2, v32, v2
	v_fma_f32 v4, v72, s10, -v88
	s_mov_b32 s14, 0x3f3d2fb0
	v_fmac_f32_e32 v49, 0xbf4c4adb, v69
	v_mul_f32_e32 v168, 0x3f2c7751, v107
	v_add_f32_e32 v2, v4, v2
	v_fma_f32 v4, v73, s9, -v89
	v_add_f32_e32 v48, v49, v48
	v_fma_f32 v49, v70, s14, -v168
	v_mul_f32_e32 v169, 0xbf7ee86f, v108
	v_add_f32_e32 v2, v4, v2
	v_fma_f32 v4, v74, s14, -v90
	v_add_f32_e32 v49, v49, v48
	v_mov_b32_e32 v48, v169
	v_mul_f32_e32 v170, 0xbe3c28d5, v109
	v_add_f32_e32 v2, v4, v2
	v_fma_f32 v4, v75, s11, -v91
	v_fmac_f32_e32 v48, 0x3dbcf732, v71
	v_mov_b32_e32 v50, v170
	v_add_f32_e32 v2, v4, v2
	v_fma_f32 v4, v76, s15, -v92
	v_add_f32_e32 v48, v32, v48
	v_fmac_f32_e32 v50, 0xbf7ba420, v72
	v_mul_f32_e32 v171, 0x3f763a35, v110
	v_add_f32_e32 v2, v4, v2
	v_fma_f32 v4, v77, s16, -v93
	v_add_f32_e32 v48, v50, v48
	v_mov_b32_e32 v50, v171
	v_add_f32_e32 v2, v4, v2
	v_fma_f32 v4, v78, s17, -v94
	v_fmac_f32_e32 v95, 0xbf06c442, v54
	v_fmac_f32_e32 v50, 0xbe8c1d8e, v73
	v_mul_f32_e32 v172, 0x3eb8f4ab, v111
	v_add_f32_e32 v2, v4, v2
	v_add_f32_e32 v4, v33, v95
	v_fmac_f32_e32 v96, 0x3f65296c, v55
	v_add_f32_e32 v48, v50, v48
	v_mov_b32_e32 v50, v172
	v_add_f32_e32 v4, v96, v4
	v_fmac_f32_e32 v97, 0xbf7ee86f, v65
	v_fmac_f32_e32 v50, 0x3f6eb680, v74
	v_mul_f32_e32 v173, 0xbf65296c, v112
	v_add_f32_e32 v4, v97, v4
	v_fmac_f32_e32 v116, 0x3f4c4adb, v66
	v_add_f32_e32 v48, v50, v48
	v_mov_b32_e32 v50, v173
	v_add_f32_e32 v4, v116, v4
	v_fmac_f32_e32 v117, 0xbeb8f4ab, v67
	v_fmac_f32_e32 v50, 0x3ee437d1, v75
	v_mul_f32_e32 v174, 0xbf06c442, v113
	;; [unrolled: 8-line block ×3, first 2 shown]
	v_add_f32_e32 v4, v119, v4
	v_fmac_f32_e32 v120, 0xbe8c1d8e, v70
	v_add_f32_e32 v48, v50, v48
	v_mov_b32_e32 v50, v175
	v_add_f32_e32 v5, v120, v4
	v_fma_f32 v4, v71, s9, -v121
	v_fmac_f32_e32 v50, 0xbf1a4643, v77
	v_mul_f32_e32 v176, 0x3f2c7751, v115
	v_add_f32_e32 v4, v32, v4
	v_fma_f32 v6, v72, s15, -v122
	v_add_f32_e32 v48, v50, v48
	v_mov_b32_e32 v50, v176
	v_add_f32_e32 v4, v6, v4
	v_fma_f32 v6, v73, s17, -v123
	v_fmac_f32_e32 v50, 0x3f3d2fb0, v78
	v_mul_f32_e32 v177, 0x3ee437d1, v100
	v_add_f32_e32 v4, v6, v4
	v_fma_f32 v6, v74, s11, -v124
	v_add_f32_e32 v48, v50, v48
	v_mov_b32_e32 v50, v177
	v_mul_f32_e32 v178, 0xbf1a4643, v101
	v_add_f32_e32 v4, v6, v4
	v_fma_f32 v6, v75, s10, -v125
	v_fmac_f32_e32 v50, 0x3f65296c, v54
	v_mov_b32_e32 v51, v178
	v_add_f32_e32 v4, v6, v4
	v_fma_f32 v6, v76, s8, -v126
	v_add_f32_e32 v50, v33, v50
	v_fmac_f32_e32 v51, 0x3f4c4adb, v55
	v_mul_f32_e32 v179, 0xbf7ba420, v102
	v_add_f32_e32 v4, v6, v4
	v_fma_f32 v6, v77, s14, -v127
	v_add_f32_e32 v50, v51, v50
	v_mov_b32_e32 v51, v179
	v_add_f32_e32 v4, v6, v4
	v_fma_f32 v6, v78, s16, -v128
	v_fmac_f32_e32 v129, 0xbf4c4adb, v54
	v_fmac_f32_e32 v51, 0xbe3c28d5, v65
	v_mul_f32_e32 v180, 0xbe8c1d8e, v103
	v_add_f32_e32 v4, v6, v4
	v_add_f32_e32 v6, v33, v129
	v_fmac_f32_e32 v130, 0x3f763a35, v55
	v_add_f32_e32 v50, v51, v50
	v_mov_b32_e32 v51, v180
	v_add_f32_e32 v6, v130, v6
	v_fmac_f32_e32 v131, 0xbeb8f4ab, v65
	v_fmac_f32_e32 v51, 0xbf763a35, v66
	v_mul_f32_e32 v181, 0x3f3d2fb0, v104
	v_add_f32_e32 v6, v131, v6
	v_fmac_f32_e32 v132, 0xbf06c442, v66
	v_add_f32_e32 v50, v51, v50
	v_mov_b32_e32 v51, v181
	v_add_f32_e32 v6, v132, v6
	v_fmac_f32_e32 v133, 0x3f7ee86f, v67
	v_fmac_f32_e32 v51, 0xbf2c7751, v67
	v_mul_f32_e32 v182, 0x3f6eb680, v105
	;; [unrolled: 8-line block ×3, first 2 shown]
	v_add_f32_e32 v6, v135, v6
	v_fmac_f32_e32 v136, 0x3ee437d1, v70
	v_add_f32_e32 v50, v51, v50
	v_mov_b32_e32 v51, v183
	v_add_f32_e32 v7, v136, v6
	v_fma_f32 v6, v71, s11, -v137
	v_fmac_f32_e32 v51, 0x3f7ee86f, v69
	v_mul_f32_e32 v184, 0xbf06c442, v107
	v_add_f32_e32 v6, v32, v6
	v_fma_f32 v8, v72, s16, -v138
	v_add_f32_e32 v50, v51, v50
	v_fma_f32 v51, v70, s9, -v184
	v_mul_f32_e32 v185, 0xbf65296c, v108
	v_add_f32_e32 v6, v8, v6
	v_fma_f32 v8, v73, s10, -v139
	v_add_f32_e32 v51, v51, v50
	v_mov_b32_e32 v50, v185
	v_mul_f32_e32 v186, 0xbf4c4adb, v109
	v_add_f32_e32 v6, v8, v6
	v_fma_f32 v8, v74, s9, -v140
	v_fmac_f32_e32 v50, 0x3ee437d1, v71
	v_mov_b32_e32 v98, v186
	v_add_f32_e32 v6, v8, v6
	v_fma_f32 v8, v75, s17, -v141
	v_add_f32_e32 v50, v32, v50
	v_fmac_f32_e32 v98, 0xbf1a4643, v72
	v_mul_f32_e32 v187, 0x3e3c28d5, v110
	v_add_f32_e32 v6, v8, v6
	v_fma_f32 v8, v76, s14, -v142
	v_add_f32_e32 v50, v98, v50
	v_mov_b32_e32 v98, v187
	v_add_f32_e32 v6, v8, v6
	v_fma_f32 v8, v77, s8, -v143
	v_fmac_f32_e32 v98, 0xbf7ba420, v73
	v_mul_f32_e32 v188, 0x3f763a35, v111
	v_add_f32_e32 v6, v8, v6
	v_fma_f32 v8, v78, s15, -v144
	v_fmac_f32_e32 v145, 0xbf763a35, v54
	v_add_f32_e32 v50, v98, v50
	v_mov_b32_e32 v98, v188
	v_add_f32_e32 v6, v8, v6
	v_add_f32_e32 v8, v33, v145
	v_fmac_f32_e32 v146, 0x3f06c442, v55
	v_fmac_f32_e32 v98, 0xbe8c1d8e, v74
	v_mul_f32_e32 v189, 0x3f2c7751, v112
	v_add_f32_e32 v8, v146, v8
	v_fmac_f32_e32 v147, 0x3f2c7751, v65
	v_add_f32_e32 v50, v98, v50
	v_mov_b32_e32 v98, v189
	v_add_f32_e32 v8, v147, v8
	v_fmac_f32_e32 v148, 0xbf65296c, v66
	v_fmac_f32_e32 v98, 0x3f3d2fb0, v75
	v_mul_f32_e32 v190, 0xbeb8f4ab, v113
	v_add_f32_e32 v8, v148, v8
	v_fmac_f32_e32 v149, 0xbe3c28d5, v67
	v_add_f32_e32 v50, v98, v50
	v_mov_b32_e32 v98, v190
	;; [unrolled: 8-line block ×3, first 2 shown]
	v_add_f32_e32 v8, v151, v8
	v_fmac_f32_e32 v152, 0xbf1a4643, v70
	v_fmac_f32_e32 v98, 0x3dbcf732, v77
	v_mul_f32_e32 v192, 0xbf06c442, v115
	v_add_f32_e32 v9, v152, v8
	v_fma_f32 v8, v71, s16, -v153
	v_add_f32_e32 v50, v98, v50
	v_mov_b32_e32 v98, v192
	v_add_f32_e32 v8, v32, v8
	v_fma_f32 v10, v72, s9, -v154
	v_fmac_f32_e32 v98, 0xbf59a7d5, v78
	v_mul_f32_e32 v193, 0x3f3d2fb0, v100
	v_add_f32_e32 v8, v10, v8
	v_fma_f32 v10, v73, s14, -v155
	v_add_f32_e32 v50, v98, v50
	v_mov_b32_e32 v98, v193
	v_mul_f32_e32 v194, 0x3dbcf732, v101
	v_add_f32_e32 v8, v10, v8
	v_fma_f32 v10, v74, s15, -v156
	v_fmac_f32_e32 v98, 0x3f2c7751, v54
	v_mov_b32_e32 v99, v194
	v_add_f32_e32 v8, v10, v8
	v_fma_f32 v10, v75, s8, -v157
	v_add_f32_e32 v98, v33, v98
	v_fmac_f32_e32 v99, 0x3f7ee86f, v55
	v_mul_f32_e32 v195, 0xbf1a4643, v102
	v_add_f32_e32 v8, v10, v8
	v_fma_f32 v10, v76, s17, -v158
	v_add_f32_e32 v98, v99, v98
	v_mov_b32_e32 v99, v195
	v_add_f32_e32 v8, v10, v8
	v_fma_f32 v10, v77, s10, -v159
	v_fmac_f32_e32 v99, 0x3f4c4adb, v65
	v_mul_f32_e32 v196, 0xbf7ba420, v103
	v_add_f32_e32 v8, v10, v8
	v_fma_f32 v10, v78, s11, -v160
	v_fmac_f32_e32 v161, 0xbf7ee86f, v54
	v_add_f32_e32 v98, v99, v98
	v_mov_b32_e32 v99, v196
	v_add_f32_e32 v8, v10, v8
	v_add_f32_e32 v10, v33, v161
	v_fmac_f32_e32 v162, 0xbe3c28d5, v55
	v_fmac_f32_e32 v99, 0x3e3c28d5, v66
	v_mul_f32_e32 v197, 0xbf59a7d5, v104
	v_add_f32_e32 v10, v162, v10
	v_fmac_f32_e32 v163, 0x3f763a35, v65
	v_add_f32_e32 v98, v99, v98
	v_mov_b32_e32 v99, v197
	v_add_f32_e32 v10, v163, v10
	v_fmac_f32_e32 v164, 0x3eb8f4ab, v66
	v_fmac_f32_e32 v99, 0xbf06c442, v67
	v_mul_f32_e32 v198, 0xbe8c1d8e, v105
	v_add_f32_e32 v10, v164, v10
	v_fmac_f32_e32 v165, 0xbf65296c, v67
	v_add_f32_e32 v98, v99, v98
	v_mov_b32_e32 v99, v198
	;; [unrolled: 8-line block ×3, first 2 shown]
	v_add_f32_e32 v10, v167, v10
	v_fmac_f32_e32 v168, 0x3f3d2fb0, v70
	v_fmac_f32_e32 v99, 0xbf65296c, v69
	v_mul_f32_e32 v200, 0x3eb8f4ab, v107
	v_add_f32_e32 v11, v168, v10
	v_fma_f32 v10, v71, s17, -v169
	v_add_f32_e32 v98, v99, v98
	v_fma_f32 v99, v70, s10, -v200
	v_mul_f32_e32 v201, 0xbf2c7751, v108
	v_add_f32_e32 v10, v32, v10
	v_fma_f32 v12, v72, s8, -v170
	v_add_f32_e32 v99, v99, v98
	v_mov_b32_e32 v98, v201
	v_mul_f32_e32 v202, 0xbf7ee86f, v109
	v_add_f32_e32 v10, v12, v10
	v_fma_f32 v12, v73, s16, -v171
	v_fmac_f32_e32 v98, 0x3f3d2fb0, v71
	v_mov_b32_e32 v203, v202
	v_add_f32_e32 v10, v12, v10
	v_fma_f32 v12, v74, s10, -v172
	v_add_f32_e32 v98, v32, v98
	v_fmac_f32_e32 v203, 0x3dbcf732, v72
	v_add_f32_e32 v10, v12, v10
	v_fma_f32 v12, v75, s15, -v173
	v_add_f32_e32 v98, v203, v98
	v_mul_f32_e32 v203, 0xbf4c4adb, v110
	v_add_f32_e32 v10, v12, v10
	v_fma_f32 v12, v76, s9, -v174
	v_mov_b32_e32 v204, v203
	v_add_f32_e32 v10, v12, v10
	v_fma_f32 v12, v77, s11, -v175
	v_fmac_f32_e32 v204, 0xbf1a4643, v73
	v_add_f32_e32 v10, v12, v10
	v_fma_f32 v12, v78, s14, -v176
	v_fmac_f32_e32 v177, 0xbf65296c, v54
	v_add_f32_e32 v98, v204, v98
	v_mul_f32_e32 v204, 0xbe3c28d5, v111
	v_add_f32_e32 v10, v12, v10
	v_add_f32_e32 v12, v33, v177
	v_fmac_f32_e32 v178, 0xbf4c4adb, v55
	v_mov_b32_e32 v205, v204
	v_add_f32_e32 v12, v178, v12
	v_fmac_f32_e32 v179, 0x3e3c28d5, v65
	v_fmac_f32_e32 v205, 0xbf7ba420, v74
	v_add_f32_e32 v12, v179, v12
	v_fmac_f32_e32 v180, 0x3f763a35, v66
	v_add_f32_e32 v98, v205, v98
	v_mul_f32_e32 v205, 0x3f06c442, v112
	v_add_f32_e32 v12, v180, v12
	v_fmac_f32_e32 v181, 0x3f2c7751, v67
	v_mov_b32_e32 v206, v205
	v_add_f32_e32 v12, v181, v12
	v_fmac_f32_e32 v182, 0xbeb8f4ab, v68
	v_fmac_f32_e32 v206, 0xbf59a7d5, v75
	v_add_f32_e32 v12, v182, v12
	v_fmac_f32_e32 v183, 0xbf7ee86f, v69
	v_add_f32_e32 v98, v206, v98
	v_mul_f32_e32 v206, 0x3f763a35, v113
	v_add_f32_e32 v12, v183, v12
	v_fmac_f32_e32 v184, 0xbf59a7d5, v70
	v_mov_b32_e32 v207, v206
	v_add_f32_e32 v13, v184, v12
	v_fma_f32 v12, v71, s15, -v185
	v_fmac_f32_e32 v207, 0xbe8c1d8e, v76
	v_add_f32_e32 v12, v32, v12
	v_fma_f32 v14, v72, s11, -v186
	v_add_f32_e32 v98, v207, v98
	v_mul_f32_e32 v207, 0x3f65296c, v114
	v_add_f32_e32 v12, v14, v12
	v_fma_f32 v14, v73, s8, -v187
	v_mov_b32_e32 v208, v207
	v_add_f32_e32 v12, v14, v12
	v_fma_f32 v14, v74, s16, -v188
	v_fmac_f32_e32 v208, 0x3ee437d1, v77
	v_add_f32_e32 v12, v14, v12
	v_fma_f32 v14, v75, s14, -v189
	v_add_f32_e32 v98, v208, v98
	v_mul_f32_e32 v208, 0x3eb8f4ab, v115
	v_add_f32_e32 v12, v14, v12
	v_fma_f32 v14, v76, s10, -v190
	v_mov_b32_e32 v209, v208
	v_add_f32_e32 v12, v14, v12
	v_fma_f32 v14, v77, s17, -v191
	v_fmac_f32_e32 v209, 0x3f6eb680, v78
	v_add_f32_e32 v12, v14, v12
	v_fma_f32 v14, v78, s9, -v192
	v_fmac_f32_e32 v193, 0xbf2c7751, v54
	v_add_f32_e32 v98, v209, v98
	v_mul_f32_e32 v209, 0x3f6eb680, v100
	v_add_f32_e32 v12, v14, v12
	v_add_f32_e32 v14, v33, v193
	v_fmac_f32_e32 v194, 0xbf7ee86f, v55
	v_mov_b32_e32 v100, v209
	v_mul_f32_e32 v210, 0x3f3d2fb0, v101
	v_add_f32_e32 v14, v194, v14
	v_fmac_f32_e32 v195, 0xbf4c4adb, v65
	v_fmac_f32_e32 v100, 0x3eb8f4ab, v54
	v_mov_b32_e32 v101, v210
	v_add_f32_e32 v14, v195, v14
	v_fmac_f32_e32 v196, 0xbe3c28d5, v66
	v_add_f32_e32 v100, v33, v100
	v_fmac_f32_e32 v101, 0x3f2c7751, v55
	v_mul_f32_e32 v102, 0x3ee437d1, v102
	v_add_f32_e32 v14, v196, v14
	v_fmac_f32_e32 v197, 0x3f06c442, v67
	v_add_f32_e32 v100, v101, v100
	v_mov_b32_e32 v101, v102
	v_add_f32_e32 v14, v197, v14
	v_fmac_f32_e32 v198, 0x3f763a35, v68
	v_fmac_f32_e32 v101, 0x3f65296c, v65
	v_mul_f32_e32 v103, 0x3dbcf732, v103
	v_add_f32_e32 v14, v198, v14
	v_fmac_f32_e32 v199, 0x3f65296c, v69
	v_add_f32_e32 v100, v101, v100
	v_mov_b32_e32 v101, v103
	v_add_f32_e32 v14, v199, v14
	v_fmac_f32_e32 v200, 0x3f6eb680, v70
	v_fmac_f32_e32 v101, 0x3f7ee86f, v66
	v_mul_f32_e32 v104, 0xbe8c1d8e, v104
	v_add_f32_e32 v15, v200, v14
	v_fma_f32 v14, v71, s14, -v201
	v_add_f32_e32 v100, v101, v100
	v_mov_b32_e32 v101, v104
	v_add_f32_e32 v14, v32, v14
	v_fma_f32 v16, v72, s17, -v202
	v_fmac_f32_e32 v101, 0x3f763a35, v67
	v_mul_f32_e32 v105, 0xbf1a4643, v105
	v_add_f32_e32 v14, v16, v14
	v_fma_f32 v16, v73, s11, -v203
	v_add_f32_e32 v100, v101, v100
	v_mov_b32_e32 v101, v105
	v_add_f32_e32 v14, v16, v14
	v_fma_f32 v16, v74, s8, -v204
	;; [unrolled: 8-line block ×3, first 2 shown]
	v_fmac_f32_e32 v101, 0x3f06c442, v69
	v_mul_f32_e32 v107, 0xbe3c28d5, v107
	v_add_f32_e32 v14, v16, v14
	v_fma_f32 v16, v77, s15, -v207
	v_add_f32_e32 v100, v101, v100
	v_fma_f32 v101, v70, s8, -v107
	v_mul_f32_e32 v108, 0xbeb8f4ab, v108
	v_add_f32_e32 v14, v16, v14
	v_fma_f32 v16, v78, s10, -v208
	v_fmac_f32_e32 v209, 0xbeb8f4ab, v54
	v_add_f32_e32 v101, v101, v100
	v_mov_b32_e32 v100, v108
	v_mul_f32_e32 v109, 0xbf2c7751, v109
	v_add_f32_e32 v14, v16, v14
	v_add_f32_e32 v16, v33, v209
	v_fmac_f32_e32 v210, 0xbf2c7751, v55
	v_fmac_f32_e32 v100, 0x3f6eb680, v71
	v_mov_b32_e32 v211, v109
	v_add_f32_e32 v16, v210, v16
	v_fmac_f32_e32 v102, 0xbf65296c, v65
	v_add_f32_e32 v100, v32, v100
	v_fmac_f32_e32 v211, 0x3f3d2fb0, v72
	v_mul_f32_e32 v110, 0xbf65296c, v110
	v_add_f32_e32 v16, v102, v16
	v_fmac_f32_e32 v103, 0xbf7ee86f, v66
	v_add_f32_e32 v100, v211, v100
	v_mov_b32_e32 v211, v110
	v_add_f32_e32 v16, v103, v16
	v_fmac_f32_e32 v104, 0xbf763a35, v67
	v_fmac_f32_e32 v211, 0x3ee437d1, v73
	v_mul_f32_e32 v111, 0xbf7ee86f, v111
	v_add_f32_e32 v16, v104, v16
	v_fmac_f32_e32 v105, 0xbf4c4adb, v68
	v_add_f32_e32 v100, v211, v100
	v_mov_b32_e32 v211, v111
	v_add_f32_e32 v16, v105, v16
	v_fmac_f32_e32 v106, 0xbf06c442, v69
	v_fmac_f32_e32 v211, 0x3dbcf732, v74
	v_mul_f32_e32 v112, 0xbf763a35, v112
	v_add_f32_e32 v16, v106, v16
	v_fmac_f32_e32 v107, 0xbf7ba420, v70
	v_add_f32_e32 v100, v211, v100
	v_mov_b32_e32 v211, v112
	v_add_f32_e32 v17, v107, v16
	v_fma_f32 v16, v71, s10, -v108
	v_fmac_f32_e32 v211, 0xbe8c1d8e, v75
	v_mul_f32_e32 v113, 0xbf4c4adb, v113
	v_add_f32_e32 v16, v32, v16
	v_fma_f32 v18, v72, s14, -v109
	v_add_f32_e32 v100, v211, v100
	v_mov_b32_e32 v211, v113
	v_add_f32_e32 v16, v18, v16
	v_fma_f32 v18, v73, s15, -v110
	v_fmac_f32_e32 v211, 0xbf1a4643, v76
	v_mul_f32_e32 v114, 0xbf06c442, v114
	v_add_f32_e32 v16, v18, v16
	v_fma_f32 v18, v74, s17, -v111
	v_add_f32_e32 v100, v211, v100
	v_mov_b32_e32 v211, v114
	v_add_f32_e32 v16, v18, v16
	v_fma_f32 v18, v75, s16, -v112
	v_fmac_f32_e32 v211, 0xbf59a7d5, v77
	v_mul_f32_e32 v115, 0xbe3c28d5, v115
	v_add_f32_e32 v16, v18, v16
	v_fma_f32 v18, v76, s11, -v113
	v_add_f32_e32 v100, v211, v100
	v_mov_b32_e32 v211, v115
	v_add_f32_e32 v16, v18, v16
	v_fma_f32 v18, v77, s9, -v114
	v_fmac_f32_e32 v211, 0xbf7ba420, v78
	v_add_f32_e32 v16, v18, v16
	v_fma_f32 v18, v78, s8, -v115
	v_add_f32_e32 v100, v211, v100
	v_add_f32_e32 v1, v58, v1
	;; [unrolled: 1-line block ×4, first 2 shown]
	v_lshl_add_u32 v18, v64, 3, v63
	ds_write2_b64 v18, v[0:1], v[100:101] offset1:1
	ds_write2_b64 v18, v[98:99], v[50:51] offset0:2 offset1:3
	ds_write2_b64 v18, v[48:49], v[46:47] offset0:4 offset1:5
	ds_write2_b64 v18, v[44:45], v[42:43] offset0:6 offset1:7
	ds_write2_b64 v18, v[40:41], v[2:3] offset0:8 offset1:9
	ds_write2_b64 v18, v[4:5], v[6:7] offset0:10 offset1:11
	ds_write2_b64 v18, v[8:9], v[10:11] offset0:12 offset1:13
	ds_write2_b64 v18, v[12:13], v[14:15] offset0:14 offset1:15
	ds_write_b64 v18, v[16:17] offset:128
.LBB0_13:
	s_or_b64 exec, exec, s[4:5]
	s_waitcnt lgkmcnt(0)
	s_barrier
	ds_read2_b64 v[0:3], v53 offset1:17
	ds_read2_b64 v[4:7], v53 offset0:34 offset1:51
	ds_read_b64 v[8:9], v53 offset:544
	s_waitcnt lgkmcnt(2)
	v_mul_f32_e32 v10, v25, v3
	v_fmac_f32_e32 v10, v24, v2
	v_mul_f32_e32 v2, v25, v2
	v_fma_f32 v11, v24, v3, -v2
	s_waitcnt lgkmcnt(1)
	v_mul_f32_e32 v12, v27, v5
	v_mul_f32_e32 v2, v27, v4
	;; [unrolled: 1-line block ×3, first 2 shown]
	v_fmac_f32_e32 v12, v26, v4
	v_fma_f32 v13, v26, v5, -v2
	v_fmac_f32_e32 v14, v20, v6
	v_mul_f32_e32 v2, v21, v6
	v_fma_f32 v15, v20, v7, -v2
	s_waitcnt lgkmcnt(0)
	v_mul_f32_e32 v2, v23, v8
	v_add_f32_e32 v3, v12, v14
	v_mul_f32_e32 v7, v23, v9
	v_fma_f32 v16, v22, v9, -v2
	v_fma_f32 v4, -0.5, v3, v0
	v_fmac_f32_e32 v7, v22, v8
	v_sub_f32_e32 v3, v11, v16
	v_mov_b32_e32 v6, v4
	v_fmac_f32_e32 v6, 0xbf737871, v3
	v_sub_f32_e32 v5, v13, v15
	v_sub_f32_e32 v8, v10, v12
	;; [unrolled: 1-line block ×3, first 2 shown]
	v_fmac_f32_e32 v4, 0x3f737871, v3
	v_fmac_f32_e32 v6, 0xbf167918, v5
	v_add_f32_e32 v8, v8, v9
	v_fmac_f32_e32 v4, 0x3f167918, v5
	v_fmac_f32_e32 v6, 0x3e9e377a, v8
	v_fmac_f32_e32 v4, 0x3e9e377a, v8
	v_add_f32_e32 v8, v10, v7
	v_add_f32_e32 v2, v0, v10
	v_fma_f32 v0, -0.5, v8, v0
	v_mov_b32_e32 v8, v0
	v_add_f32_e32 v2, v2, v12
	v_fmac_f32_e32 v8, 0x3f737871, v5
	v_fmac_f32_e32 v0, 0xbf737871, v5
	v_add_f32_e32 v5, v13, v15
	v_add_f32_e32 v2, v2, v14
	v_sub_f32_e32 v9, v12, v10
	v_sub_f32_e32 v17, v14, v7
	v_fma_f32 v5, -0.5, v5, v1
	v_add_f32_e32 v2, v2, v7
	v_fmac_f32_e32 v8, 0xbf167918, v3
	v_add_f32_e32 v9, v9, v17
	v_fmac_f32_e32 v0, 0x3f167918, v3
	v_sub_f32_e32 v10, v10, v7
	v_mov_b32_e32 v7, v5
	v_fmac_f32_e32 v8, 0x3e9e377a, v9
	v_fmac_f32_e32 v0, 0x3e9e377a, v9
	;; [unrolled: 1-line block ×3, first 2 shown]
	v_sub_f32_e32 v12, v12, v14
	v_sub_f32_e32 v9, v11, v13
	;; [unrolled: 1-line block ×3, first 2 shown]
	v_fmac_f32_e32 v5, 0xbf737871, v10
	v_fmac_f32_e32 v7, 0x3f167918, v12
	v_add_f32_e32 v9, v9, v14
	v_fmac_f32_e32 v5, 0xbf167918, v12
	v_fmac_f32_e32 v7, 0x3e9e377a, v9
	;; [unrolled: 1-line block ×3, first 2 shown]
	v_add_f32_e32 v9, v11, v16
	v_add_f32_e32 v3, v1, v11
	v_fma_f32 v1, -0.5, v9, v1
	v_add_f32_e32 v3, v3, v13
	v_mov_b32_e32 v9, v1
	v_add_f32_e32 v3, v3, v15
	v_fmac_f32_e32 v9, 0xbf737871, v12
	v_sub_f32_e32 v11, v13, v11
	v_sub_f32_e32 v13, v15, v16
	v_fmac_f32_e32 v1, 0x3f737871, v12
	v_add_f32_e32 v3, v3, v16
	v_fmac_f32_e32 v9, 0x3f167918, v10
	v_add_f32_e32 v11, v11, v13
	v_fmac_f32_e32 v1, 0xbf167918, v10
	v_fmac_f32_e32 v9, 0x3e9e377a, v11
	;; [unrolled: 1-line block ×3, first 2 shown]
	ds_write2_b64 v52, v[2:3], v[6:7] offset1:17
	ds_write2_b64 v52, v[8:9], v[0:1] offset0:34 offset1:51
	ds_write_b64 v52, v[4:5] offset:544
	s_waitcnt lgkmcnt(0)
	s_barrier
	s_and_b64 exec, exec, vcc
	s_cbranch_execz .LBB0_15
; %bb.14:
	global_load_dwordx2 v[0:1], v60, s[6:7]
	ds_read_b64 v[4:5], v52
	v_mad_u64_u32 v[2:3], s[4:5], s2, v56, 0
	v_mad_u64_u32 v[6:7], s[4:5], s0, v59, 0
	s_waitcnt lgkmcnt(0)
	v_mad_u64_u32 v[8:9], s[2:3], s3, v56, v[3:4]
	s_mov_b32 s4, 0x18181818
	s_mov_b32 s5, 0x3f881818
	v_mad_u64_u32 v[9:10], s[2:3], s1, v59, v[7:8]
	v_mov_b32_e32 v11, s13
	s_mul_i32 s3, s1, 40
	v_mov_b32_e32 v7, v9
	v_lshlrev_b64 v[6:7], 3, v[6:7]
	s_mul_hi_u32 s8, s0, 40
	s_mul_i32 s2, s0, 40
	s_add_i32 s3, s8, s3
	s_waitcnt vmcnt(0)
	v_mul_f32_e32 v3, v5, v1
	v_mul_f32_e32 v1, v4, v1
	v_fmac_f32_e32 v3, v4, v0
	v_fma_f32 v4, v0, v5, -v1
	v_cvt_f64_f32_e32 v[0:1], v3
	v_cvt_f64_f32_e32 v[4:5], v4
	v_mov_b32_e32 v3, v8
	v_lshlrev_b64 v[2:3], 3, v[2:3]
	v_mul_f64 v[0:1], v[0:1], s[4:5]
	v_mul_f64 v[4:5], v[4:5], s[4:5]
	v_add_co_u32_e32 v9, vcc, s12, v2
	v_addc_co_u32_e32 v10, vcc, v11, v3, vcc
	v_lshl_add_u32 v11, v62, 3, v60
	v_cvt_f32_f64_e32 v0, v[0:1]
	v_cvt_f32_f64_e32 v1, v[4:5]
	v_add_co_u32_e32 v4, vcc, v9, v6
	v_addc_co_u32_e32 v5, vcc, v10, v7, vcc
	global_store_dwordx2 v[4:5], v[0:1], off
	global_load_dwordx2 v[6:7], v60, s[6:7] offset:40
	ds_read2_b64 v[0:3], v11 offset0:5 offset1:10
	v_add_co_u32_e32 v4, vcc, s2, v4
	s_waitcnt vmcnt(0) lgkmcnt(0)
	v_mul_f32_e32 v8, v1, v7
	v_mul_f32_e32 v7, v0, v7
	v_fmac_f32_e32 v8, v0, v6
	v_fma_f32 v6, v6, v1, -v7
	v_cvt_f64_f32_e32 v[0:1], v8
	v_cvt_f64_f32_e32 v[6:7], v6
	v_mov_b32_e32 v8, s3
	v_addc_co_u32_e32 v5, vcc, v5, v8, vcc
	v_mul_f64 v[0:1], v[0:1], s[4:5]
	v_mul_f64 v[6:7], v[6:7], s[4:5]
	v_cvt_f32_f64_e32 v0, v[0:1]
	v_cvt_f32_f64_e32 v1, v[6:7]
	global_store_dwordx2 v[4:5], v[0:1], off
	global_load_dwordx2 v[0:1], v60, s[6:7] offset:80
	v_add_co_u32_e32 v4, vcc, s2, v4
	s_waitcnt vmcnt(0)
	v_mul_f32_e32 v6, v3, v1
	v_mul_f32_e32 v1, v2, v1
	v_fmac_f32_e32 v6, v2, v0
	v_fma_f32 v2, v0, v3, -v1
	v_cvt_f64_f32_e32 v[0:1], v6
	v_cvt_f64_f32_e32 v[2:3], v2
	v_mov_b32_e32 v6, s3
	v_addc_co_u32_e32 v5, vcc, v5, v6, vcc
	v_mul_f64 v[0:1], v[0:1], s[4:5]
	v_mul_f64 v[2:3], v[2:3], s[4:5]
	v_cvt_f32_f64_e32 v0, v[0:1]
	v_cvt_f32_f64_e32 v1, v[2:3]
	global_store_dwordx2 v[4:5], v[0:1], off
	global_load_dwordx2 v[6:7], v60, s[6:7] offset:120
	ds_read2_b64 v[0:3], v11 offset0:15 offset1:20
	v_add_co_u32_e32 v4, vcc, s2, v4
	s_waitcnt vmcnt(0) lgkmcnt(0)
	v_mul_f32_e32 v8, v1, v7
	v_mul_f32_e32 v7, v0, v7
	v_fmac_f32_e32 v8, v0, v6
	v_fma_f32 v6, v6, v1, -v7
	v_cvt_f64_f32_e32 v[0:1], v8
	v_cvt_f64_f32_e32 v[6:7], v6
	v_mov_b32_e32 v8, s3
	v_addc_co_u32_e32 v5, vcc, v5, v8, vcc
	v_mul_f64 v[0:1], v[0:1], s[4:5]
	v_mul_f64 v[6:7], v[6:7], s[4:5]
	v_cvt_f32_f64_e32 v0, v[0:1]
	v_cvt_f32_f64_e32 v1, v[6:7]
	global_store_dwordx2 v[4:5], v[0:1], off
	global_load_dwordx2 v[0:1], v60, s[6:7] offset:160
	v_add_co_u32_e32 v4, vcc, s2, v4
	s_waitcnt vmcnt(0)
	v_mul_f32_e32 v6, v3, v1
	v_mul_f32_e32 v1, v2, v1
	v_fmac_f32_e32 v6, v2, v0
	v_fma_f32 v2, v0, v3, -v1
	v_cvt_f64_f32_e32 v[0:1], v6
	v_cvt_f64_f32_e32 v[2:3], v2
	v_mov_b32_e32 v6, s3
	v_addc_co_u32_e32 v5, vcc, v5, v6, vcc
	v_mul_f64 v[0:1], v[0:1], s[4:5]
	v_mul_f64 v[2:3], v[2:3], s[4:5]
	v_cvt_f32_f64_e32 v0, v[0:1]
	v_cvt_f32_f64_e32 v1, v[2:3]
	global_store_dwordx2 v[4:5], v[0:1], off
	global_load_dwordx2 v[6:7], v60, s[6:7] offset:200
	ds_read2_b64 v[0:3], v11 offset0:25 offset1:30
	v_add_co_u32_e32 v4, vcc, s2, v4
	s_waitcnt vmcnt(0) lgkmcnt(0)
	v_mul_f32_e32 v8, v1, v7
	v_mul_f32_e32 v7, v0, v7
	v_fmac_f32_e32 v8, v0, v6
	v_fma_f32 v6, v6, v1, -v7
	v_cvt_f64_f32_e32 v[0:1], v8
	v_cvt_f64_f32_e32 v[6:7], v6
	v_mov_b32_e32 v8, s3
	v_addc_co_u32_e32 v5, vcc, v5, v8, vcc
	v_mul_f64 v[0:1], v[0:1], s[4:5]
	v_mul_f64 v[6:7], v[6:7], s[4:5]
	v_cvt_f32_f64_e32 v0, v[0:1]
	v_cvt_f32_f64_e32 v1, v[6:7]
	global_store_dwordx2 v[4:5], v[0:1], off
	global_load_dwordx2 v[0:1], v60, s[6:7] offset:240
	v_add_co_u32_e32 v4, vcc, s2, v4
	s_waitcnt vmcnt(0)
	v_mul_f32_e32 v6, v3, v1
	v_mul_f32_e32 v1, v2, v1
	v_fmac_f32_e32 v6, v2, v0
	v_fma_f32 v2, v0, v3, -v1
	v_cvt_f64_f32_e32 v[0:1], v6
	v_cvt_f64_f32_e32 v[2:3], v2
	v_mov_b32_e32 v6, s3
	v_addc_co_u32_e32 v5, vcc, v5, v6, vcc
	v_mul_f64 v[0:1], v[0:1], s[4:5]
	v_mul_f64 v[2:3], v[2:3], s[4:5]
	v_cvt_f32_f64_e32 v0, v[0:1]
	v_cvt_f32_f64_e32 v1, v[2:3]
	global_store_dwordx2 v[4:5], v[0:1], off
	global_load_dwordx2 v[6:7], v60, s[6:7] offset:280
	ds_read2_b64 v[0:3], v11 offset0:35 offset1:40
	v_add_co_u32_e32 v4, vcc, s2, v4
	s_waitcnt vmcnt(0) lgkmcnt(0)
	v_mul_f32_e32 v8, v1, v7
	v_mul_f32_e32 v7, v0, v7
	v_fmac_f32_e32 v8, v0, v6
	v_fma_f32 v6, v6, v1, -v7
	v_cvt_f64_f32_e32 v[0:1], v8
	v_cvt_f64_f32_e32 v[6:7], v6
	v_mov_b32_e32 v8, s3
	v_addc_co_u32_e32 v5, vcc, v5, v8, vcc
	v_mul_f64 v[0:1], v[0:1], s[4:5]
	v_mul_f64 v[6:7], v[6:7], s[4:5]
	v_cvt_f32_f64_e32 v0, v[0:1]
	v_cvt_f32_f64_e32 v1, v[6:7]
	v_mad_u64_u32 v[6:7], s[8:9], s0, v61, 0
	global_store_dwordx2 v[4:5], v[0:1], off
	global_load_dwordx2 v[0:1], v60, s[6:7] offset:320
	s_waitcnt vmcnt(0)
	v_mul_f32_e32 v8, v3, v1
	v_mul_f32_e32 v1, v2, v1
	v_fmac_f32_e32 v8, v2, v0
	v_fma_f32 v2, v0, v3, -v1
	v_cvt_f64_f32_e32 v[0:1], v8
	v_cvt_f64_f32_e32 v[2:3], v2
	v_mad_u64_u32 v[7:8], s[8:9], s1, v61, v[7:8]
	v_mul_f64 v[0:1], v[0:1], s[4:5]
	v_mul_f64 v[2:3], v[2:3], s[4:5]
	v_lshlrev_b64 v[6:7], 3, v[6:7]
	v_cvt_f32_f64_e32 v0, v[0:1]
	v_cvt_f32_f64_e32 v1, v[2:3]
	v_add_co_u32_e32 v2, vcc, v9, v6
	v_addc_co_u32_e32 v3, vcc, v10, v7, vcc
	global_store_dwordx2 v[2:3], v[0:1], off
	global_load_dwordx2 v[6:7], v60, s[6:7] offset:360
	ds_read2_b64 v[0:3], v11 offset0:45 offset1:50
	s_waitcnt vmcnt(0) lgkmcnt(0)
	v_mul_f32_e32 v8, v1, v7
	v_mul_f32_e32 v7, v0, v7
	v_fmac_f32_e32 v8, v0, v6
	v_fma_f32 v6, v6, v1, -v7
	v_cvt_f64_f32_e32 v[0:1], v8
	v_cvt_f64_f32_e32 v[6:7], v6
	v_mov_b32_e32 v8, 0x50
	v_mad_u64_u32 v[4:5], s[8:9], s0, v8, v[4:5]
	v_mul_f64 v[0:1], v[0:1], s[4:5]
	v_mul_f64 v[6:7], v[6:7], s[4:5]
	s_mul_i32 s8, s1, 0x50
	v_add_u32_e32 v5, s8, v5
	v_cvt_f32_f64_e32 v0, v[0:1]
	v_cvt_f32_f64_e32 v1, v[6:7]
	global_store_dwordx2 v[4:5], v[0:1], off
	global_load_dwordx2 v[0:1], v60, s[6:7] offset:400
	v_add_co_u32_e32 v4, vcc, s2, v4
	s_waitcnt vmcnt(0)
	v_mul_f32_e32 v6, v3, v1
	v_mul_f32_e32 v1, v2, v1
	v_fmac_f32_e32 v6, v2, v0
	v_fma_f32 v2, v0, v3, -v1
	v_cvt_f64_f32_e32 v[0:1], v6
	v_cvt_f64_f32_e32 v[2:3], v2
	v_mov_b32_e32 v6, s3
	v_addc_co_u32_e32 v5, vcc, v5, v6, vcc
	v_mul_f64 v[0:1], v[0:1], s[4:5]
	v_mul_f64 v[2:3], v[2:3], s[4:5]
	v_cvt_f32_f64_e32 v0, v[0:1]
	v_cvt_f32_f64_e32 v1, v[2:3]
	global_store_dwordx2 v[4:5], v[0:1], off
	global_load_dwordx2 v[6:7], v60, s[6:7] offset:440
	ds_read2_b64 v[0:3], v11 offset0:55 offset1:60
	v_add_co_u32_e32 v4, vcc, s2, v4
	s_waitcnt vmcnt(0) lgkmcnt(0)
	v_mul_f32_e32 v8, v1, v7
	v_mul_f32_e32 v7, v0, v7
	v_fmac_f32_e32 v8, v0, v6
	v_fma_f32 v6, v6, v1, -v7
	v_cvt_f64_f32_e32 v[0:1], v8
	v_cvt_f64_f32_e32 v[6:7], v6
	v_mov_b32_e32 v8, s3
	v_addc_co_u32_e32 v5, vcc, v5, v8, vcc
	v_mul_f64 v[0:1], v[0:1], s[4:5]
	v_mul_f64 v[6:7], v[6:7], s[4:5]
	v_cvt_f32_f64_e32 v0, v[0:1]
	v_cvt_f32_f64_e32 v1, v[6:7]
	global_store_dwordx2 v[4:5], v[0:1], off
	global_load_dwordx2 v[0:1], v60, s[6:7] offset:480
	v_add_co_u32_e32 v4, vcc, s2, v4
	s_waitcnt vmcnt(0)
	v_mul_f32_e32 v6, v3, v1
	v_mul_f32_e32 v1, v2, v1
	v_fmac_f32_e32 v6, v2, v0
	v_fma_f32 v2, v0, v3, -v1
	v_cvt_f64_f32_e32 v[0:1], v6
	v_cvt_f64_f32_e32 v[2:3], v2
	v_mov_b32_e32 v6, s3
	v_addc_co_u32_e32 v5, vcc, v5, v6, vcc
	v_mul_f64 v[0:1], v[0:1], s[4:5]
	v_mul_f64 v[2:3], v[2:3], s[4:5]
	v_cvt_f32_f64_e32 v0, v[0:1]
	v_cvt_f32_f64_e32 v1, v[2:3]
	global_store_dwordx2 v[4:5], v[0:1], off
	global_load_dwordx2 v[6:7], v60, s[6:7] offset:520
	ds_read2_b64 v[0:3], v11 offset0:65 offset1:70
	v_add_co_u32_e32 v4, vcc, s2, v4
	s_waitcnt vmcnt(0) lgkmcnt(0)
	v_mul_f32_e32 v8, v1, v7
	v_mul_f32_e32 v7, v0, v7
	v_fmac_f32_e32 v8, v0, v6
	v_fma_f32 v6, v6, v1, -v7
	v_cvt_f64_f32_e32 v[0:1], v8
	v_cvt_f64_f32_e32 v[6:7], v6
	v_mov_b32_e32 v8, s3
	v_addc_co_u32_e32 v5, vcc, v5, v8, vcc
	v_mul_f64 v[0:1], v[0:1], s[4:5]
	v_mul_f64 v[6:7], v[6:7], s[4:5]
	v_cvt_f32_f64_e32 v0, v[0:1]
	v_cvt_f32_f64_e32 v1, v[6:7]
	global_store_dwordx2 v[4:5], v[0:1], off
	global_load_dwordx2 v[0:1], v60, s[6:7] offset:560
	v_add_co_u32_e32 v4, vcc, s2, v4
	s_waitcnt vmcnt(0)
	v_mul_f32_e32 v6, v3, v1
	v_mul_f32_e32 v1, v2, v1
	v_fmac_f32_e32 v6, v2, v0
	v_fma_f32 v2, v0, v3, -v1
	v_cvt_f64_f32_e32 v[0:1], v6
	v_cvt_f64_f32_e32 v[2:3], v2
	v_mov_b32_e32 v6, s3
	v_addc_co_u32_e32 v5, vcc, v5, v6, vcc
	v_mul_f64 v[0:1], v[0:1], s[4:5]
	v_mul_f64 v[2:3], v[2:3], s[4:5]
	v_cvt_f32_f64_e32 v0, v[0:1]
	v_cvt_f32_f64_e32 v1, v[2:3]
	global_store_dwordx2 v[4:5], v[0:1], off
	global_load_dwordx2 v[6:7], v60, s[6:7] offset:600
	ds_read2_b64 v[0:3], v11 offset0:75 offset1:80
	v_add_co_u32_e32 v4, vcc, s2, v4
	s_waitcnt vmcnt(0) lgkmcnt(0)
	v_mul_f32_e32 v8, v1, v7
	v_mul_f32_e32 v7, v0, v7
	v_fmac_f32_e32 v8, v0, v6
	v_fma_f32 v6, v6, v1, -v7
	v_cvt_f64_f32_e32 v[0:1], v8
	v_cvt_f64_f32_e32 v[6:7], v6
	v_mov_b32_e32 v8, s3
	v_addc_co_u32_e32 v5, vcc, v5, v8, vcc
	v_mul_f64 v[0:1], v[0:1], s[4:5]
	v_mul_f64 v[6:7], v[6:7], s[4:5]
	v_cvt_f32_f64_e32 v0, v[0:1]
	v_cvt_f32_f64_e32 v1, v[6:7]
	v_or_b32_e32 v6, 0x50, v59
	global_store_dwordx2 v[4:5], v[0:1], off
	global_load_dwordx2 v[0:1], v60, s[6:7] offset:640
	v_mad_u64_u32 v[4:5], s[2:3], s0, v6, 0
	v_mad_u64_u32 v[5:6], s[0:1], s1, v6, v[5:6]
	v_lshlrev_b64 v[4:5], 3, v[4:5]
	s_waitcnt vmcnt(0)
	v_mul_f32_e32 v7, v3, v1
	v_mul_f32_e32 v1, v2, v1
	v_fmac_f32_e32 v7, v2, v0
	v_fma_f32 v2, v0, v3, -v1
	v_cvt_f64_f32_e32 v[0:1], v7
	v_cvt_f64_f32_e32 v[2:3], v2
	v_mul_f64 v[0:1], v[0:1], s[4:5]
	v_mul_f64 v[2:3], v[2:3], s[4:5]
	v_cvt_f32_f64_e32 v0, v[0:1]
	v_cvt_f32_f64_e32 v1, v[2:3]
	v_add_co_u32_e32 v2, vcc, v9, v4
	v_addc_co_u32_e32 v3, vcc, v10, v5, vcc
	global_store_dwordx2 v[2:3], v[0:1], off
.LBB0_15:
	s_endpgm
	.section	.rodata,"a",@progbits
	.p2align	6, 0x0
	.amdhsa_kernel bluestein_single_back_len85_dim1_sp_op_CI_CI
		.amdhsa_group_segment_fixed_size 10200
		.amdhsa_private_segment_fixed_size 0
		.amdhsa_kernarg_size 104
		.amdhsa_user_sgpr_count 6
		.amdhsa_user_sgpr_private_segment_buffer 1
		.amdhsa_user_sgpr_dispatch_ptr 0
		.amdhsa_user_sgpr_queue_ptr 0
		.amdhsa_user_sgpr_kernarg_segment_ptr 1
		.amdhsa_user_sgpr_dispatch_id 0
		.amdhsa_user_sgpr_flat_scratch_init 0
		.amdhsa_user_sgpr_private_segment_size 0
		.amdhsa_uses_dynamic_stack 0
		.amdhsa_system_sgpr_private_segment_wavefront_offset 0
		.amdhsa_system_sgpr_workgroup_id_x 1
		.amdhsa_system_sgpr_workgroup_id_y 0
		.amdhsa_system_sgpr_workgroup_id_z 0
		.amdhsa_system_sgpr_workgroup_info 0
		.amdhsa_system_vgpr_workitem_id 0
		.amdhsa_next_free_vgpr 212
		.amdhsa_next_free_sgpr 18
		.amdhsa_reserve_vcc 1
		.amdhsa_reserve_flat_scratch 0
		.amdhsa_float_round_mode_32 0
		.amdhsa_float_round_mode_16_64 0
		.amdhsa_float_denorm_mode_32 3
		.amdhsa_float_denorm_mode_16_64 3
		.amdhsa_dx10_clamp 1
		.amdhsa_ieee_mode 1
		.amdhsa_fp16_overflow 0
		.amdhsa_exception_fp_ieee_invalid_op 0
		.amdhsa_exception_fp_denorm_src 0
		.amdhsa_exception_fp_ieee_div_zero 0
		.amdhsa_exception_fp_ieee_overflow 0
		.amdhsa_exception_fp_ieee_underflow 0
		.amdhsa_exception_fp_ieee_inexact 0
		.amdhsa_exception_int_div_zero 0
	.end_amdhsa_kernel
	.text
.Lfunc_end0:
	.size	bluestein_single_back_len85_dim1_sp_op_CI_CI, .Lfunc_end0-bluestein_single_back_len85_dim1_sp_op_CI_CI
                                        ; -- End function
	.section	.AMDGPU.csdata,"",@progbits
; Kernel info:
; codeLenInByte = 15096
; NumSgprs: 22
; NumVgprs: 212
; ScratchSize: 0
; MemoryBound: 0
; FloatMode: 240
; IeeeMode: 1
; LDSByteSize: 10200 bytes/workgroup (compile time only)
; SGPRBlocks: 2
; VGPRBlocks: 52
; NumSGPRsForWavesPerEU: 22
; NumVGPRsForWavesPerEU: 212
; Occupancy: 1
; WaveLimiterHint : 1
; COMPUTE_PGM_RSRC2:SCRATCH_EN: 0
; COMPUTE_PGM_RSRC2:USER_SGPR: 6
; COMPUTE_PGM_RSRC2:TRAP_HANDLER: 0
; COMPUTE_PGM_RSRC2:TGID_X_EN: 1
; COMPUTE_PGM_RSRC2:TGID_Y_EN: 0
; COMPUTE_PGM_RSRC2:TGID_Z_EN: 0
; COMPUTE_PGM_RSRC2:TIDIG_COMP_CNT: 0
	.type	__hip_cuid_cc628db5b8be3470,@object ; @__hip_cuid_cc628db5b8be3470
	.section	.bss,"aw",@nobits
	.globl	__hip_cuid_cc628db5b8be3470
__hip_cuid_cc628db5b8be3470:
	.byte	0                               ; 0x0
	.size	__hip_cuid_cc628db5b8be3470, 1

	.ident	"AMD clang version 19.0.0git (https://github.com/RadeonOpenCompute/llvm-project roc-6.4.0 25133 c7fe45cf4b819c5991fe208aaa96edf142730f1d)"
	.section	".note.GNU-stack","",@progbits
	.addrsig
	.addrsig_sym __hip_cuid_cc628db5b8be3470
	.amdgpu_metadata
---
amdhsa.kernels:
  - .args:
      - .actual_access:  read_only
        .address_space:  global
        .offset:         0
        .size:           8
        .value_kind:     global_buffer
      - .actual_access:  read_only
        .address_space:  global
        .offset:         8
        .size:           8
        .value_kind:     global_buffer
      - .actual_access:  read_only
        .address_space:  global
        .offset:         16
        .size:           8
        .value_kind:     global_buffer
      - .actual_access:  read_only
        .address_space:  global
        .offset:         24
        .size:           8
        .value_kind:     global_buffer
      - .actual_access:  read_only
        .address_space:  global
        .offset:         32
        .size:           8
        .value_kind:     global_buffer
      - .offset:         40
        .size:           8
        .value_kind:     by_value
      - .address_space:  global
        .offset:         48
        .size:           8
        .value_kind:     global_buffer
      - .address_space:  global
        .offset:         56
        .size:           8
        .value_kind:     global_buffer
      - .address_space:  global
        .offset:         64
        .size:           8
        .value_kind:     global_buffer
      - .address_space:  global
        .offset:         72
        .size:           8
        .value_kind:     global_buffer
      - .offset:         80
        .size:           4
        .value_kind:     by_value
      - .address_space:  global
        .offset:         88
        .size:           8
        .value_kind:     global_buffer
      - .address_space:  global
        .offset:         96
        .size:           8
        .value_kind:     global_buffer
    .group_segment_fixed_size: 10200
    .kernarg_segment_align: 8
    .kernarg_segment_size: 104
    .language:       OpenCL C
    .language_version:
      - 2
      - 0
    .max_flat_workgroup_size: 255
    .name:           bluestein_single_back_len85_dim1_sp_op_CI_CI
    .private_segment_fixed_size: 0
    .sgpr_count:     22
    .sgpr_spill_count: 0
    .symbol:         bluestein_single_back_len85_dim1_sp_op_CI_CI.kd
    .uniform_work_group_size: 1
    .uses_dynamic_stack: false
    .vgpr_count:     212
    .vgpr_spill_count: 0
    .wavefront_size: 64
amdhsa.target:   amdgcn-amd-amdhsa--gfx906
amdhsa.version:
  - 1
  - 2
...

	.end_amdgpu_metadata
